;; amdgpu-corpus repo=triton-lang/triton kind=triton arch=gfx1201 opt=O3 lang=triton
	.amdgcn_target "amdgcn-amd-amdhsa--gfx1201"
	.amdhsa_code_object_version 5
	.text
	.globl	matmul_kernel                   ; -- Begin function matmul_kernel
	.p2align	8
	.type	matmul_kernel,@function
matmul_kernel:                          ; @matmul_kernel
.Lfunc_begin0:
	.file	1 "/root/src/amdgpu-assembly/repos/triton-lang__triton-aot" "matmul.py"
	.loc	1 7 0                           ; matmul.py:7:0
	.cfi_sections .debug_frame
	.cfi_startproc
; %bb.0:
	s_load_b128 s[20:23], s[0:1], 0x18
.Ltmp0:
	.loc	1 16 22 prologue_end            ; matmul.py:16:22
	s_abs_i32 s5, ttmp9
	.loc	1 31 20                         ; matmul.py:31:20
	s_bfe_u32 s18, ttmp8, 0x50019
	s_load_b32 s40, s[0:1], 0x28
	v_dual_mov_b32 v4, 0 :: v_dual_and_b32 v5, 31, v0
	s_delay_alu instid0(VALU_DEP_1)
	v_mov_b32_e32 v104, v5
.Ltmp1:
	.file	2 "/root/.local/lib/python3.13/site-packages/triton/language" "standard.py"
	.loc	2 43 17                         ; standard.py:43:17 @[ matmul.py:14:27 ]
	s_wait_kmcnt 0x0
	s_add_co_i32 s2, s21, 63
.Ltmp2:
	.loc	2 43 17 is_stmt 0               ; standard.py:43:17 @[ matmul.py:13:27 ]
	s_add_co_i32 s6, s20, 0x7f
.Ltmp3:
	.loc	2 43 30                         ; standard.py:43:30 @[ matmul.py:14:27 ]
	s_ashr_i32 s3, s2, 31
.Ltmp4:
	.loc	2 43 30                         ; standard.py:43:30 @[ matmul.py:13:27 ]
	s_ashr_i32 s8, s6, 31
.Ltmp5:
	.loc	2 43 30                         ; standard.py:43:30 @[ matmul.py:14:27 ]
	s_lshr_b32 s3, s3, 26
.Ltmp6:
	.loc	2 43 30                         ; standard.py:43:30 @[ matmul.py:13:27 ]
	s_lshr_b32 s8, s8, 25
.Ltmp7:
	.loc	2 43 30                         ; standard.py:43:30 @[ matmul.py:14:27 ]
	s_add_co_i32 s2, s2, s3
.Ltmp8:
	.loc	2 43 30                         ; standard.py:43:30 @[ matmul.py:13:27 ]
	s_add_co_i32 s6, s6, s8
.Ltmp9:
	.loc	2 43 30                         ; standard.py:43:30 @[ matmul.py:14:27 ]
	s_ashr_i32 s2, s2, 6
.Ltmp10:
	.loc	2 43 30                         ; standard.py:43:30 @[ matmul.py:13:27 ]
	s_ashr_i32 s6, s6, 7
.Ltmp11:
	.loc	1 15 38 is_stmt 1               ; matmul.py:15:38
	s_lshl_b32 s2, s2, 2
	.loc	1 30 51                         ; matmul.py:30:51
	v_cmp_gt_i32_e32 vcc_lo, s22, v5
	.loc	1 16 22                         ; matmul.py:16:22
	s_abs_i32 s3, s2
	s_delay_alu instid0(SALU_CYCLE_1) | instskip(SKIP_1) | instid1(SALU_CYCLE_2)
	s_cvt_f32_u32 s4, s3
	s_sub_co_i32 s7, 0, s3
	v_rcp_iflag_f32_e32 v1, s4
	s_delay_alu instid0(TRANS32_DEP_1) | instskip(SKIP_2) | instid1(SALU_CYCLE_2)
	v_readfirstlane_b32 s4, v1
	s_mul_f32 s4, s4, 0x4f7ffffe
	s_wait_alu depctr_sa_sdst(0)
	s_cvt_u32_f32 s4, s4
	s_wait_alu depctr_sa_sdst(0)
	s_delay_alu instid0(SALU_CYCLE_2) | instskip(NEXT) | instid1(SALU_CYCLE_1)
	s_mul_i32 s7, s7, s4
	s_mul_hi_u32 s7, s4, s7
	s_delay_alu instid0(SALU_CYCLE_1)
	s_add_co_i32 s4, s4, s7
	s_xor_b32 s7, ttmp9, s2
	s_wait_alu depctr_sa_sdst(0)
	s_mul_hi_u32 s4, s5, s4
	s_ashr_i32 s7, s7, 31
	s_wait_alu depctr_sa_sdst(0)
	s_mul_i32 s8, s4, s3
	s_delay_alu instid0(SALU_CYCLE_1)
	s_sub_co_i32 s5, s5, s8
	s_add_co_i32 s8, s4, 1
	s_wait_alu depctr_sa_sdst(0)
	s_sub_co_i32 s9, s5, s3
	s_cmp_ge_u32 s5, s3
	s_cselect_b32 s4, s8, s4
	s_cselect_b32 s5, s9, s5
	s_wait_alu depctr_sa_sdst(0)
	s_add_co_i32 s8, s4, 1
	s_cmp_ge_u32 s5, s3
	s_cselect_b32 s3, s8, s4
	s_delay_alu instid0(SALU_CYCLE_1) | instskip(NEXT) | instid1(SALU_CYCLE_1)
	s_xor_b32 s3, s3, s7
	s_sub_co_i32 s3, s3, s7
	s_delay_alu instid0(SALU_CYCLE_1)
	.loc	1 17 29                         ; matmul.py:17:29
	s_lshl_b32 s4, s3, 2
	.loc	1 19 34                         ; matmul.py:19:34
	s_mul_i32 s3, s3, s2
	.loc	1 18 35                         ; matmul.py:18:35
	s_wait_alu depctr_sa_sdst(0)
	s_sub_co_i32 s5, s6, s4
	.loc	1 19 34                         ; matmul.py:19:34
	s_sub_co_i32 s2, ttmp9, s3
	.loc	1 18 48                         ; matmul.py:18:48
	s_wait_alu depctr_sa_sdst(0)
	s_min_i32 s5, s5, 4
	.loc	1 20 40                         ; matmul.py:20:40
	s_wait_alu depctr_sa_sdst(0)
	s_abs_i32 s6, s5
	s_delay_alu instid0(SALU_CYCLE_1) | instskip(SKIP_1) | instid1(SALU_CYCLE_2)
	s_cvt_f32_u32 s7, s6
	s_sub_co_i32 s8, 0, s6
	v_rcp_iflag_f32_e32 v1, s7
	s_delay_alu instid0(TRANS32_DEP_1) | instskip(SKIP_2) | instid1(SALU_CYCLE_2)
	v_readfirstlane_b32 s7, v1
	s_mul_f32 s7, s7, 0x4f7ffffe
	s_wait_alu depctr_sa_sdst(0)
	s_cvt_u32_f32 s7, s7
	s_wait_alu depctr_sa_sdst(0)
	s_delay_alu instid0(SALU_CYCLE_2) | instskip(NEXT) | instid1(SALU_CYCLE_1)
	s_mul_i32 s8, s8, s7
	s_mul_hi_u32 s3, s7, s8
	s_abs_i32 s8, s2
	s_add_co_i32 s7, s7, s3
	s_wait_alu depctr_sa_sdst(0)
	s_mul_hi_u32 s3, s8, s7
	s_xor_b32 s7, s2, s5
	s_mul_i32 s9, s3, s6
	s_wait_alu depctr_sa_sdst(0)
	s_ashr_i32 s7, s7, 31
	s_sub_co_i32 s8, s8, s9
	s_add_co_i32 s9, s3, 1
	s_sub_co_i32 s10, s8, s6
	s_cmp_ge_u32 s8, s6
	s_cselect_b32 s3, s9, s3
	s_cselect_b32 s8, s10, s8
	s_add_co_i32 s9, s3, 1
	s_cmp_ge_u32 s8, s6
	s_cselect_b32 s3, s9, s3
	.loc	1 22 68                         ; matmul.py:22:68
	s_abs_i32 s19, s20
	.loc	1 20 40                         ; matmul.py:20:40
	s_wait_alu depctr_sa_sdst(0)
	s_xor_b32 s3, s3, s7
	.loc	1 22 68                         ; matmul.py:22:68
	s_cvt_f32_u32 s6, s19
	.loc	1 20 40                         ; matmul.py:20:40
	s_sub_co_i32 s30, s3, s7
	.loc	1 22 51                         ; matmul.py:22:51
	s_and_b32 s3, s18, 3
	.loc	1 19 54                         ; matmul.py:19:54
	s_mul_i32 s5, s30, s5
	.loc	1 22 68                         ; matmul.py:22:68
	s_wait_alu depctr_sa_sdst(0)
	v_rcp_iflag_f32_e32 v1, s6
	.loc	1 19 54                         ; matmul.py:19:54
	s_sub_co_i32 s2, s2, s5
	.loc	1 22 68                         ; matmul.py:22:68
	s_sub_co_i32 s5, 0, s19
	.loc	1 19 27                         ; matmul.py:19:27
	s_add_co_i32 s2, s2, s4
	s_mov_b32 s9, 0
	.loc	1 22 23                         ; matmul.py:22:23
	s_lshl_b32 s16, s2, 7
	.loc	1 22 68 is_stmt 0               ; matmul.py:22:68
	s_bfe_i32 s26, s2, 0x10018
	.loc	1 22 38                         ; matmul.py:22:38
	s_or_b32 s29, s16, s3
	.loc	1 22 68                         ; matmul.py:22:68
	s_mov_b32 s11, s9
	s_add_co_i32 s29, s29, s26
	v_readfirstlane_b32 s6, v1
	s_xor_b32 s3, s29, s26
	s_mov_b32 s7, s9
	s_mul_f32 s6, s6, 0x4f7ffffe
	s_wait_alu depctr_sa_sdst(0)
	s_delay_alu instid0(SALU_CYCLE_2) | instskip(SKIP_1) | instid1(SALU_CYCLE_2)
	s_cvt_u32_f32 s4, s6
	s_wait_alu depctr_sa_sdst(0)
	s_mul_i32 s5, s5, s4
	s_wait_alu depctr_sa_sdst(0)
	s_mul_hi_u32 s2, s4, s5
	s_delay_alu instid0(SALU_CYCLE_1) | instskip(SKIP_4) | instid1(SALU_CYCLE_1)
	s_add_co_i32 s10, s4, s2
	s_load_b64 s[4:5], s[0:1], 0x0
	s_mul_hi_u32 s2, s3, s10
	.loc	1 25 71 is_stmt 1               ; matmul.py:25:71
	v_mul_lo_u32 v1, s40, v5
	.loc	1 22 68                         ; matmul.py:22:68
	s_mul_i32 s2, s2, s19
	s_sub_co_i32 s2, s3, s2
	s_delay_alu instid0(SALU_CYCLE_1) | instskip(SKIP_2) | instid1(SALU_CYCLE_1)
	s_sub_co_i32 s3, s2, s19
	s_cmp_ge_u32 s2, s19
	s_cselect_b32 s2, s3, s2
	s_sub_co_i32 s3, s2, s19
	s_cmp_ge_u32 s2, s19
	s_cselect_b32 s2, s3, s2
	.loc	1 23 68                         ; matmul.py:23:68
	s_abs_i32 s27, s21
	.loc	1 22 68                         ; matmul.py:22:68
	s_xor_b32 s2, s2, s26
	s_add_co_i32 s3, s29, 4
	s_sub_co_i32 s2, s2, s26
	s_xor_b32 s6, s3, s26
	.loc	1 25 53                         ; matmul.py:25:53
	v_mad_co_u64_u32 v[2:3], null, s2, s23, v[1:2]
	.loc	1 23 68                         ; matmul.py:23:68
	s_cvt_f32_u32 s2, s27
	.loc	1 22 68                         ; matmul.py:22:68
	s_add_co_i32 s8, s29, 8
	s_add_co_i32 s13, s29, 12
.Ltmp12:
	.loc	2 43 17                         ; standard.py:43:17 @[ matmul.py:29:33 ]
	s_add_co_i32 s34, s22, 31
.Ltmp13:
	.loc	1 23 68                         ; matmul.py:23:68
	s_wait_alu depctr_sa_sdst(0)
	v_rcp_iflag_f32_e32 v5, s2
	.loc	1 22 68                         ; matmul.py:22:68
	s_mul_u64 s[2:3], s[6:7], s[10:11]
	.loc	1 25 22                         ; matmul.py:25:22
	v_ashrrev_i32_e32 v3, 31, v2
	.loc	1 22 68                         ; matmul.py:22:68
	s_add_co_i32 s14, s29, 16
	s_xor_b32 s12, s8, s26
	s_xor_b32 s8, s13, s26
	.loc	1 29 22                         ; matmul.py:29:22
	s_cmp_gt_i32 s34, 31
	.loc	1 25 22                         ; matmul.py:25:22
	v_lshlrev_b64_e32 v[2:3], 1, v[2:3]
	.loc	1 29 22                         ; matmul.py:29:22
	s_cselect_b32 s17, -1, 0
	.loc	1 22 68                         ; matmul.py:22:68
	s_mov_b32 s13, s9
	.loc	1 23 68                         ; matmul.py:23:68
	v_readfirstlane_b32 s24, v5
	v_mov_b32_e32 v5, 0
	.loc	1 29 22                         ; matmul.py:29:22
	s_and_b32 s28, vcc_lo, s17
	.loc	1 25 22                         ; matmul.py:25:22
	s_wait_kmcnt 0x0
	v_add_co_u32 v99, s2, s4, v2
	s_wait_alu depctr_sa_sdst(0) depctr_va_sdst(0)
	v_add_co_ci_u32_e64 v100, null, s5, v3, s2
	scratch_store_b64 off, v[2:3], off      ; 8-byte Folded Spill
	.loc	1 30 20                         ; matmul.py:30:20
	s_and_saveexec_b32 s2, s28
	s_cbranch_execz .LBB0_2
; %bb.1:
	global_load_u16 v5, v[99:100], off
.LBB0_2:
	.loc	1 0 20 is_stmt 0                ; matmul.py:0:20
	s_wait_alu depctr_sa_sdst(0)
	s_or_b32 exec_lo, exec_lo, s2
	.loc	1 22 68 is_stmt 1               ; matmul.py:22:68
	s_mul_i32 s2, s3, s19
	.loc	1 0 0 is_stmt 0                 ; matmul.py:0
	s_add_co_i32 s7, s29, 20
	.loc	1 22 68                         ; matmul.py:22:68
	s_wait_alu depctr_sa_sdst(0)
	s_sub_co_i32 s2, s6, s2
	.loc	1 0 0                           ; matmul.py:0
	s_xor_b32 s6, s14, s26
	.loc	1 22 68                         ; matmul.py:22:68
	s_wait_alu depctr_sa_sdst(0)
	s_sub_co_i32 s3, s2, s19
	s_cmp_ge_u32 s2, s19
	s_wait_alu depctr_sa_sdst(0)
	s_cselect_b32 s2, s3, s2
	s_wait_alu depctr_sa_sdst(0)
	s_sub_co_i32 s3, s2, s19
	s_cmp_ge_u32 s2, s19
	s_wait_alu depctr_sa_sdst(0)
	s_cselect_b32 s2, s3, s2
	s_wait_alu depctr_sa_sdst(0)
	s_xor_b32 s2, s2, s26
	s_wait_alu depctr_sa_sdst(0)
	s_sub_co_i32 s2, s2, s26
	.loc	1 25 53 is_stmt 1               ; matmul.py:25:53
	s_wait_alu depctr_sa_sdst(0)
	v_mad_co_u64_u32 v[2:3], null, s2, s23, v[1:2]
	.loc	1 0 0 is_stmt 0                 ; matmul.py:0
	s_mul_u64 s[2:3], s[12:13], s[10:11]
	.loc	1 25 22                         ; matmul.py:25:22
	v_ashrrev_i32_e32 v3, 31, v2
	s_delay_alu instid0(VALU_DEP_1) | instskip(NEXT) | instid1(VALU_DEP_1)
	v_lshlrev_b64_e32 v[2:3], 1, v[2:3]
	v_add_co_u32 v67, vcc_lo, s4, v2
	s_delay_alu instid0(VALU_DEP_1)
	v_add_co_ci_u32_e64 v68, null, s5, v3, vcc_lo
	scratch_store_b64 off, v[2:3], off offset:8 ; 8-byte Folded Spill
	.loc	1 30 20 is_stmt 1               ; matmul.py:30:20
	s_and_saveexec_b32 s2, s28
	s_cbranch_execz .LBB0_4
; %bb.3:
	global_load_u16 v4, v[67:68], off
.LBB0_4:
	.loc	1 0 20 is_stmt 0                ; matmul.py:0:20
	s_wait_alu depctr_sa_sdst(0)
	s_or_b32 exec_lo, exec_lo, s2
	.loc	1 22 68 is_stmt 1               ; matmul.py:22:68
	s_mul_i32 s2, s3, s19
	.loc	1 0 0 is_stmt 0                 ; matmul.py:0
	s_add_co_i32 s3, s29, 24
	.loc	1 22 68                         ; matmul.py:22:68
	s_wait_alu depctr_sa_sdst(0)
	s_sub_co_i32 s12, s12, s2
	.loc	1 0 0                           ; matmul.py:0
	s_xor_b32 s2, s7, s26
	.loc	1 22 68                         ; matmul.py:22:68
	s_sub_co_i32 s7, s12, s19
	s_cmp_ge_u32 s12, s19
	v_dual_mov_b32 v6, 0 :: v_dual_mov_b32 v7, 0
	s_wait_alu depctr_sa_sdst(0)
	s_cselect_b32 s7, s7, s12
	s_wait_alu depctr_sa_sdst(0)
	s_sub_co_i32 s12, s7, s19
	s_cmp_ge_u32 s7, s19
	s_cselect_b32 s7, s12, s7
	.loc	1 0 0                           ; matmul.py:0
	s_mul_u64 s[12:13], s[8:9], s[10:11]
	.loc	1 22 68                         ; matmul.py:22:68
	s_wait_alu depctr_sa_sdst(0)
	s_xor_b32 s7, s7, s26
	s_wait_alu depctr_sa_sdst(0)
	s_sub_co_i32 s7, s7, s26
	.loc	1 25 53 is_stmt 1               ; matmul.py:25:53
	s_wait_alu depctr_sa_sdst(0)
	v_mad_co_u64_u32 v[2:3], null, s7, s23, v[1:2]
	.loc	1 0 0 is_stmt 0                 ; matmul.py:0
	s_mov_b32 s7, s9
	.loc	1 25 22                         ; matmul.py:25:22
	v_ashrrev_i32_e32 v3, 31, v2
	s_delay_alu instid0(VALU_DEP_1) | instskip(NEXT) | instid1(VALU_DEP_1)
	v_lshlrev_b64_e32 v[2:3], 1, v[2:3]
	v_add_co_u32 v69, vcc_lo, s4, v2
	s_wait_alu depctr_va_vcc(0)
	s_delay_alu instid0(VALU_DEP_2)
	v_add_co_ci_u32_e64 v70, null, s5, v3, vcc_lo
	scratch_store_b64 off, v[2:3], off offset:16 ; 8-byte Folded Spill
	.loc	1 30 20 is_stmt 1               ; matmul.py:30:20
	s_and_saveexec_b32 s12, s28
	s_cbranch_execz .LBB0_6
; %bb.5:
	global_load_u16 v7, v[69:70], off
.LBB0_6:
	.loc	1 0 20 is_stmt 0                ; matmul.py:0:20
	s_or_b32 exec_lo, exec_lo, s12
	.loc	1 22 68 is_stmt 1               ; matmul.py:22:68
	s_mul_i32 s12, s13, s19
	.loc	1 0 0 is_stmt 0                 ; matmul.py:0
	s_add_co_i32 s13, s29, 28
	.loc	1 22 68                         ; matmul.py:22:68
	s_sub_co_i32 s8, s8, s12
	.loc	1 0 0                           ; matmul.py:0
	s_xor_b32 s12, s3, s26
	.loc	1 22 68                         ; matmul.py:22:68
	s_sub_co_i32 s3, s8, s19
	s_cmp_ge_u32 s8, s19
	.loc	1 0 0                           ; matmul.py:0
	s_wait_alu depctr_sa_sdst(0)
	s_mul_u64 s[14:15], s[6:7], s[10:11]
	.loc	1 22 68                         ; matmul.py:22:68
	s_cselect_b32 s3, s3, s8
	s_wait_alu depctr_sa_sdst(0)
	s_sub_co_i32 s8, s3, s19
	s_cmp_ge_u32 s3, s19
	s_cselect_b32 s3, s8, s3
	s_wait_alu depctr_sa_sdst(0)
	s_xor_b32 s3, s3, s26
	s_wait_alu depctr_sa_sdst(0)
	s_sub_co_i32 s3, s3, s26
	.loc	1 25 53 is_stmt 1               ; matmul.py:25:53
	s_wait_alu depctr_sa_sdst(0)
	v_mad_co_u64_u32 v[2:3], null, s3, s23, v[1:2]
	.loc	1 0 0 is_stmt 0                 ; matmul.py:0
	s_mov_b32 s3, s9
	.loc	1 25 22                         ; matmul.py:25:22
	v_ashrrev_i32_e32 v3, 31, v2
	s_delay_alu instid0(VALU_DEP_1) | instskip(NEXT) | instid1(VALU_DEP_1)
	v_lshlrev_b64_e32 v[2:3], 1, v[2:3]
	v_add_co_u32 v71, vcc_lo, s4, v2
	s_wait_alu depctr_va_vcc(0)
	s_delay_alu instid0(VALU_DEP_2)
	v_add_co_ci_u32_e64 v72, null, s5, v3, vcc_lo
	scratch_store_b64 off, v[2:3], off offset:24 ; 8-byte Folded Spill
	.loc	1 30 20 is_stmt 1               ; matmul.py:30:20
	s_and_saveexec_b32 s7, s28
	s_cbranch_execz .LBB0_8
; %bb.7:
	global_load_u16 v6, v[71:72], off
.LBB0_8:
	.loc	1 0 20 is_stmt 0                ; matmul.py:0:20
	s_wait_alu depctr_sa_sdst(0)
	s_or_b32 exec_lo, exec_lo, s7
	.loc	1 22 68 is_stmt 1               ; matmul.py:22:68
	s_mul_i32 s7, s15, s19
	.loc	1 0 0 is_stmt 0                 ; matmul.py:0
	s_add_co_i32 s14, s29, 32
	.loc	1 22 68                         ; matmul.py:22:68
	s_wait_alu depctr_sa_sdst(0)
	s_sub_co_i32 s6, s6, s7
	.loc	1 0 0                           ; matmul.py:0
	s_xor_b32 s8, s13, s26
	.loc	1 22 68                         ; matmul.py:22:68
	s_wait_alu depctr_sa_sdst(0)
	s_sub_co_i32 s7, s6, s19
	s_cmp_ge_u32 s6, s19
	v_dual_mov_b32 v8, 0 :: v_dual_mov_b32 v9, 0
	s_wait_alu depctr_sa_sdst(0)
	s_cselect_b32 s6, s7, s6
	.loc	1 0 0                           ; matmul.py:0
	s_mov_b32 s13, s9
	.loc	1 22 68                         ; matmul.py:22:68
	s_wait_alu depctr_sa_sdst(0)
	s_sub_co_i32 s7, s6, s19
	s_cmp_ge_u32 s6, s19
	s_wait_alu depctr_sa_sdst(0)
	s_cselect_b32 s6, s7, s6
	s_wait_alu depctr_sa_sdst(0)
	s_xor_b32 s6, s6, s26
	s_wait_alu depctr_sa_sdst(0)
	s_sub_co_i32 s6, s6, s26
	.loc	1 25 53 is_stmt 1               ; matmul.py:25:53
	s_wait_alu depctr_sa_sdst(0)
	v_mad_co_u64_u32 v[2:3], null, s6, s23, v[1:2]
	.loc	1 0 0 is_stmt 0                 ; matmul.py:0
	s_mul_u64 s[6:7], s[2:3], s[10:11]
	.loc	1 25 22                         ; matmul.py:25:22
	v_ashrrev_i32_e32 v3, 31, v2
	s_delay_alu instid0(VALU_DEP_1) | instskip(NEXT) | instid1(VALU_DEP_1)
	v_lshlrev_b64_e32 v[105:106], 1, v[2:3]
	v_add_co_u32 v73, vcc_lo, s4, v105
	s_wait_alu depctr_va_vcc(0)
	s_delay_alu instid0(VALU_DEP_2)
	v_add_co_ci_u32_e64 v74, null, s5, v106, vcc_lo
	.loc	1 30 20 is_stmt 1               ; matmul.py:30:20
	s_and_saveexec_b32 s3, s28
	s_cbranch_execz .LBB0_10
; %bb.9:
	global_load_u16 v9, v[73:74], off
.LBB0_10:
	.loc	1 0 20 is_stmt 0                ; matmul.py:0:20
	s_wait_alu depctr_sa_sdst(0)
	s_or_b32 exec_lo, exec_lo, s3
	.loc	1 22 68 is_stmt 1               ; matmul.py:22:68
	s_mul_i32 s3, s7, s19
	.loc	1 0 0 is_stmt 0                 ; matmul.py:0
	s_add_co_i32 s7, s29, 36
	.loc	1 22 68                         ; matmul.py:22:68
	s_wait_alu depctr_sa_sdst(0)
	s_sub_co_i32 s2, s2, s3
	.loc	1 0 0                           ; matmul.py:0
	s_xor_b32 s6, s14, s26
	.loc	1 22 68                         ; matmul.py:22:68
	s_wait_alu depctr_sa_sdst(0)
	s_sub_co_i32 s3, s2, s19
	s_cmp_ge_u32 s2, s19
	s_wait_alu depctr_sa_sdst(0)
	s_cselect_b32 s2, s3, s2
	s_wait_alu depctr_sa_sdst(0)
	s_sub_co_i32 s3, s2, s19
	s_cmp_ge_u32 s2, s19
	s_wait_alu depctr_sa_sdst(0)
	s_cselect_b32 s2, s3, s2
	s_wait_alu depctr_sa_sdst(0)
	s_xor_b32 s2, s2, s26
	s_wait_alu depctr_sa_sdst(0)
	s_sub_co_i32 s2, s2, s26
	.loc	1 25 53 is_stmt 1               ; matmul.py:25:53
	s_wait_alu depctr_sa_sdst(0)
	v_mad_co_u64_u32 v[2:3], null, s2, s23, v[1:2]
	.loc	1 0 0 is_stmt 0                 ; matmul.py:0
	s_mul_u64 s[2:3], s[12:13], s[10:11]
	.loc	1 25 22                         ; matmul.py:25:22
	v_ashrrev_i32_e32 v3, 31, v2
	s_delay_alu instid0(VALU_DEP_1) | instskip(NEXT) | instid1(VALU_DEP_1)
	v_lshlrev_b64_e32 v[107:108], 1, v[2:3]
	v_add_co_u32 v75, vcc_lo, s4, v107
	s_wait_alu depctr_va_vcc(0)
	s_delay_alu instid0(VALU_DEP_2)
	v_add_co_ci_u32_e64 v76, null, s5, v108, vcc_lo
	.loc	1 30 20 is_stmt 1               ; matmul.py:30:20
	s_and_saveexec_b32 s2, s28
	s_cbranch_execz .LBB0_12
; %bb.11:
	global_load_u16 v8, v[75:76], off
.LBB0_12:
	.loc	1 0 20 is_stmt 0                ; matmul.py:0:20
	s_wait_alu depctr_sa_sdst(0)
	s_or_b32 exec_lo, exec_lo, s2
	.loc	1 22 68 is_stmt 1               ; matmul.py:22:68
	s_mul_i32 s2, s3, s19
	.loc	1 0 0 is_stmt 0                 ; matmul.py:0
	s_add_co_i32 s3, s29, 40
	.loc	1 22 68                         ; matmul.py:22:68
	s_wait_alu depctr_sa_sdst(0)
	s_sub_co_i32 s12, s12, s2
	.loc	1 0 0                           ; matmul.py:0
	s_xor_b32 s2, s7, s26
	.loc	1 22 68                         ; matmul.py:22:68
	s_sub_co_i32 s7, s12, s19
	s_cmp_ge_u32 s12, s19
	v_dual_mov_b32 v10, 0 :: v_dual_mov_b32 v11, 0
	s_wait_alu depctr_sa_sdst(0)
	s_cselect_b32 s7, s7, s12
	s_wait_alu depctr_sa_sdst(0)
	s_sub_co_i32 s12, s7, s19
	s_cmp_ge_u32 s7, s19
	s_cselect_b32 s7, s12, s7
	.loc	1 0 0                           ; matmul.py:0
	s_mul_u64 s[12:13], s[8:9], s[10:11]
	.loc	1 22 68                         ; matmul.py:22:68
	s_wait_alu depctr_sa_sdst(0)
	s_xor_b32 s7, s7, s26
	s_wait_alu depctr_sa_sdst(0)
	s_sub_co_i32 s7, s7, s26
	.loc	1 25 53 is_stmt 1               ; matmul.py:25:53
	s_wait_alu depctr_sa_sdst(0)
	v_mad_co_u64_u32 v[2:3], null, s7, s23, v[1:2]
	.loc	1 0 0 is_stmt 0                 ; matmul.py:0
	s_mov_b32 s7, s9
	.loc	1 25 22                         ; matmul.py:25:22
	v_ashrrev_i32_e32 v3, 31, v2
	s_delay_alu instid0(VALU_DEP_1) | instskip(NEXT) | instid1(VALU_DEP_1)
	v_lshlrev_b64_e32 v[109:110], 1, v[2:3]
	v_add_co_u32 v77, vcc_lo, s4, v109
	s_wait_alu depctr_va_vcc(0)
	s_delay_alu instid0(VALU_DEP_2)
	v_add_co_ci_u32_e64 v78, null, s5, v110, vcc_lo
	.loc	1 30 20 is_stmt 1               ; matmul.py:30:20
	s_and_saveexec_b32 s12, s28
	s_cbranch_execz .LBB0_14
; %bb.13:
	global_load_u16 v11, v[77:78], off
.LBB0_14:
	.loc	1 0 20 is_stmt 0                ; matmul.py:0:20
	s_or_b32 exec_lo, exec_lo, s12
	.loc	1 22 68 is_stmt 1               ; matmul.py:22:68
	s_mul_i32 s12, s13, s19
	.loc	1 0 0 is_stmt 0                 ; matmul.py:0
	s_add_co_i32 s13, s29, 44
	.loc	1 22 68                         ; matmul.py:22:68
	s_sub_co_i32 s8, s8, s12
	.loc	1 0 0                           ; matmul.py:0
	s_xor_b32 s12, s3, s26
	.loc	1 22 68                         ; matmul.py:22:68
	s_sub_co_i32 s3, s8, s19
	s_cmp_ge_u32 s8, s19
	.loc	1 0 0                           ; matmul.py:0
	s_wait_alu depctr_sa_sdst(0)
	s_mul_u64 s[14:15], s[6:7], s[10:11]
	.loc	1 22 68                         ; matmul.py:22:68
	s_cselect_b32 s3, s3, s8
	s_wait_alu depctr_sa_sdst(0)
	s_sub_co_i32 s8, s3, s19
	s_cmp_ge_u32 s3, s19
	s_cselect_b32 s3, s8, s3
	s_wait_alu depctr_sa_sdst(0)
	s_xor_b32 s3, s3, s26
	s_wait_alu depctr_sa_sdst(0)
	s_sub_co_i32 s3, s3, s26
	.loc	1 25 53 is_stmt 1               ; matmul.py:25:53
	s_wait_alu depctr_sa_sdst(0)
	v_mad_co_u64_u32 v[2:3], null, s3, s23, v[1:2]
	.loc	1 0 0 is_stmt 0                 ; matmul.py:0
	s_mov_b32 s3, s9
	.loc	1 25 22                         ; matmul.py:25:22
	v_ashrrev_i32_e32 v3, 31, v2
	s_delay_alu instid0(VALU_DEP_1) | instskip(NEXT) | instid1(VALU_DEP_1)
	v_lshlrev_b64_e32 v[111:112], 1, v[2:3]
	v_add_co_u32 v79, vcc_lo, s4, v111
	s_wait_alu depctr_va_vcc(0)
	s_delay_alu instid0(VALU_DEP_2)
	v_add_co_ci_u32_e64 v80, null, s5, v112, vcc_lo
	.loc	1 30 20 is_stmt 1               ; matmul.py:30:20
	s_and_saveexec_b32 s7, s28
	s_cbranch_execz .LBB0_16
; %bb.15:
	global_load_u16 v10, v[79:80], off
.LBB0_16:
	.loc	1 0 20 is_stmt 0                ; matmul.py:0:20
	s_wait_alu depctr_sa_sdst(0)
	s_or_b32 exec_lo, exec_lo, s7
	.loc	1 22 68 is_stmt 1               ; matmul.py:22:68
	s_mul_i32 s7, s15, s19
	.loc	1 0 0 is_stmt 0                 ; matmul.py:0
	s_add_co_i32 s14, s29, 48
	.loc	1 22 68                         ; matmul.py:22:68
	s_wait_alu depctr_sa_sdst(0)
	s_sub_co_i32 s6, s6, s7
	.loc	1 0 0                           ; matmul.py:0
	s_xor_b32 s8, s13, s26
	.loc	1 22 68                         ; matmul.py:22:68
	s_wait_alu depctr_sa_sdst(0)
	s_sub_co_i32 s7, s6, s19
	s_cmp_ge_u32 s6, s19
	v_dual_mov_b32 v12, 0 :: v_dual_mov_b32 v13, 0
	s_wait_alu depctr_sa_sdst(0)
	s_cselect_b32 s6, s7, s6
	.loc	1 0 0                           ; matmul.py:0
	s_mov_b32 s13, s9
	.loc	1 22 68                         ; matmul.py:22:68
	s_wait_alu depctr_sa_sdst(0)
	s_sub_co_i32 s7, s6, s19
	s_cmp_ge_u32 s6, s19
	s_wait_alu depctr_sa_sdst(0)
	s_cselect_b32 s6, s7, s6
	s_wait_alu depctr_sa_sdst(0)
	s_xor_b32 s6, s6, s26
	s_wait_alu depctr_sa_sdst(0)
	s_sub_co_i32 s6, s6, s26
	.loc	1 25 53 is_stmt 1               ; matmul.py:25:53
	s_wait_alu depctr_sa_sdst(0)
	v_mad_co_u64_u32 v[2:3], null, s6, s23, v[1:2]
	.loc	1 0 0 is_stmt 0                 ; matmul.py:0
	s_mul_u64 s[6:7], s[2:3], s[10:11]
	.loc	1 25 22                         ; matmul.py:25:22
	v_ashrrev_i32_e32 v3, 31, v2
	s_delay_alu instid0(VALU_DEP_1) | instskip(NEXT) | instid1(VALU_DEP_1)
	v_lshlrev_b64_e32 v[113:114], 1, v[2:3]
	v_add_co_u32 v81, vcc_lo, s4, v113
	s_wait_alu depctr_va_vcc(0)
	s_delay_alu instid0(VALU_DEP_2)
	v_add_co_ci_u32_e64 v82, null, s5, v114, vcc_lo
	.loc	1 30 20 is_stmt 1               ; matmul.py:30:20
	s_and_saveexec_b32 s3, s28
	s_cbranch_execz .LBB0_18
; %bb.17:
	global_load_u16 v13, v[81:82], off
.LBB0_18:
	.loc	1 0 20 is_stmt 0                ; matmul.py:0:20
	s_wait_alu depctr_sa_sdst(0)
	s_or_b32 exec_lo, exec_lo, s3
	.loc	1 22 68 is_stmt 1               ; matmul.py:22:68
	s_mul_i32 s3, s7, s19
	.loc	1 0 0 is_stmt 0                 ; matmul.py:0
	s_add_co_i32 s7, s29, 52
	.loc	1 22 68                         ; matmul.py:22:68
	s_wait_alu depctr_sa_sdst(0)
	s_sub_co_i32 s2, s2, s3
	.loc	1 0 0                           ; matmul.py:0
	s_xor_b32 s6, s14, s26
	.loc	1 22 68                         ; matmul.py:22:68
	s_wait_alu depctr_sa_sdst(0)
	s_sub_co_i32 s3, s2, s19
	s_cmp_ge_u32 s2, s19
	s_wait_alu depctr_sa_sdst(0)
	s_cselect_b32 s2, s3, s2
	s_wait_alu depctr_sa_sdst(0)
	s_sub_co_i32 s3, s2, s19
	s_cmp_ge_u32 s2, s19
	s_wait_alu depctr_sa_sdst(0)
	s_cselect_b32 s2, s3, s2
	s_wait_alu depctr_sa_sdst(0)
	s_xor_b32 s2, s2, s26
	s_wait_alu depctr_sa_sdst(0)
	s_sub_co_i32 s2, s2, s26
	.loc	1 25 53 is_stmt 1               ; matmul.py:25:53
	s_wait_alu depctr_sa_sdst(0)
	v_mad_co_u64_u32 v[2:3], null, s2, s23, v[1:2]
	.loc	1 0 0 is_stmt 0                 ; matmul.py:0
	s_mul_u64 s[2:3], s[12:13], s[10:11]
	.loc	1 25 22                         ; matmul.py:25:22
	v_ashrrev_i32_e32 v3, 31, v2
	s_delay_alu instid0(VALU_DEP_1) | instskip(NEXT) | instid1(VALU_DEP_1)
	v_lshlrev_b64_e32 v[115:116], 1, v[2:3]
	v_add_co_u32 v83, vcc_lo, s4, v115
	s_wait_alu depctr_va_vcc(0)
	s_delay_alu instid0(VALU_DEP_2)
	v_add_co_ci_u32_e64 v84, null, s5, v116, vcc_lo
	.loc	1 30 20 is_stmt 1               ; matmul.py:30:20
	s_and_saveexec_b32 s2, s28
	s_cbranch_execz .LBB0_20
; %bb.19:
	global_load_u16 v12, v[83:84], off
.LBB0_20:
	.loc	1 0 20 is_stmt 0                ; matmul.py:0:20
	s_wait_alu depctr_sa_sdst(0)
	s_or_b32 exec_lo, exec_lo, s2
	.loc	1 22 68 is_stmt 1               ; matmul.py:22:68
	s_mul_i32 s2, s3, s19
	.loc	1 0 0 is_stmt 0                 ; matmul.py:0
	s_add_co_i32 s3, s29, 56
	.loc	1 22 68                         ; matmul.py:22:68
	s_wait_alu depctr_sa_sdst(0)
	s_sub_co_i32 s12, s12, s2
	.loc	1 0 0                           ; matmul.py:0
	s_xor_b32 s2, s7, s26
	.loc	1 22 68                         ; matmul.py:22:68
	s_sub_co_i32 s7, s12, s19
	s_cmp_ge_u32 s12, s19
	v_dual_mov_b32 v14, 0 :: v_dual_mov_b32 v15, 0
	s_wait_alu depctr_sa_sdst(0)
	s_cselect_b32 s7, s7, s12
	s_wait_alu depctr_sa_sdst(0)
	s_sub_co_i32 s12, s7, s19
	s_cmp_ge_u32 s7, s19
	s_cselect_b32 s7, s12, s7
	.loc	1 0 0                           ; matmul.py:0
	s_mul_u64 s[12:13], s[8:9], s[10:11]
	.loc	1 22 68                         ; matmul.py:22:68
	s_wait_alu depctr_sa_sdst(0)
	s_xor_b32 s7, s7, s26
	s_wait_alu depctr_sa_sdst(0)
	s_sub_co_i32 s7, s7, s26
	.loc	1 25 53 is_stmt 1               ; matmul.py:25:53
	s_wait_alu depctr_sa_sdst(0)
	v_mad_co_u64_u32 v[2:3], null, s7, s23, v[1:2]
	.loc	1 0 0 is_stmt 0                 ; matmul.py:0
	s_mov_b32 s7, s9
	.loc	1 25 22                         ; matmul.py:25:22
	v_ashrrev_i32_e32 v3, 31, v2
	s_delay_alu instid0(VALU_DEP_1) | instskip(NEXT) | instid1(VALU_DEP_1)
	v_lshlrev_b64_e32 v[117:118], 1, v[2:3]
	v_add_co_u32 v65, vcc_lo, s4, v117
	s_wait_alu depctr_va_vcc(0)
	s_delay_alu instid0(VALU_DEP_2)
	v_add_co_ci_u32_e64 v66, null, s5, v118, vcc_lo
	.loc	1 30 20 is_stmt 1               ; matmul.py:30:20
	s_and_saveexec_b32 s12, s28
	s_cbranch_execz .LBB0_22
; %bb.21:
	global_load_u16 v15, v[65:66], off
.LBB0_22:
	.loc	1 0 20 is_stmt 0                ; matmul.py:0:20
	s_or_b32 exec_lo, exec_lo, s12
	.loc	1 22 68 is_stmt 1               ; matmul.py:22:68
	s_mul_i32 s12, s13, s19
	.loc	1 0 0 is_stmt 0                 ; matmul.py:0
	s_add_co_i32 s13, s29, 60
	.loc	1 22 68                         ; matmul.py:22:68
	s_sub_co_i32 s8, s8, s12
	.loc	1 0 0                           ; matmul.py:0
	s_xor_b32 s12, s3, s26
	.loc	1 22 68                         ; matmul.py:22:68
	s_sub_co_i32 s3, s8, s19
	s_cmp_ge_u32 s8, s19
	.loc	1 0 0                           ; matmul.py:0
	s_wait_alu depctr_sa_sdst(0)
	s_mul_u64 s[14:15], s[6:7], s[10:11]
	.loc	1 22 68                         ; matmul.py:22:68
	s_cselect_b32 s3, s3, s8
	s_wait_alu depctr_sa_sdst(0)
	s_sub_co_i32 s8, s3, s19
	s_cmp_ge_u32 s3, s19
	s_cselect_b32 s3, s8, s3
	s_wait_alu depctr_sa_sdst(0)
	s_xor_b32 s3, s3, s26
	s_wait_alu depctr_sa_sdst(0)
	s_sub_co_i32 s3, s3, s26
	.loc	1 25 53 is_stmt 1               ; matmul.py:25:53
	s_wait_alu depctr_sa_sdst(0)
	v_mad_co_u64_u32 v[2:3], null, s3, s23, v[1:2]
	.loc	1 0 0 is_stmt 0                 ; matmul.py:0
	s_mov_b32 s3, s9
	.loc	1 25 22                         ; matmul.py:25:22
	v_ashrrev_i32_e32 v3, 31, v2
	s_delay_alu instid0(VALU_DEP_1) | instskip(NEXT) | instid1(VALU_DEP_1)
	v_lshlrev_b64_e32 v[119:120], 1, v[2:3]
	v_add_co_u32 v87, vcc_lo, s4, v119
	s_wait_alu depctr_va_vcc(0)
	s_delay_alu instid0(VALU_DEP_2)
	v_add_co_ci_u32_e64 v88, null, s5, v120, vcc_lo
	.loc	1 30 20 is_stmt 1               ; matmul.py:30:20
	s_and_saveexec_b32 s7, s28
	s_cbranch_execz .LBB0_24
; %bb.23:
	global_load_u16 v14, v[87:88], off
.LBB0_24:
	.loc	1 0 20 is_stmt 0                ; matmul.py:0:20
	s_wait_alu depctr_sa_sdst(0)
	s_or_b32 exec_lo, exec_lo, s7
	.loc	1 22 68 is_stmt 1               ; matmul.py:22:68
	s_mul_i32 s7, s15, s19
	.loc	1 0 0 is_stmt 0                 ; matmul.py:0
	s_add_co_i32 s14, s29, 64
	.loc	1 22 68                         ; matmul.py:22:68
	s_wait_alu depctr_sa_sdst(0)
	s_sub_co_i32 s6, s6, s7
	.loc	1 0 0                           ; matmul.py:0
	s_xor_b32 s8, s13, s26
	.loc	1 22 68                         ; matmul.py:22:68
	s_wait_alu depctr_sa_sdst(0)
	s_sub_co_i32 s7, s6, s19
	s_cmp_ge_u32 s6, s19
	v_dual_mov_b32 v16, 0 :: v_dual_mov_b32 v17, 0
	s_wait_alu depctr_sa_sdst(0)
	s_cselect_b32 s6, s7, s6
	.loc	1 0 0                           ; matmul.py:0
	s_mov_b32 s13, s9
	.loc	1 22 68                         ; matmul.py:22:68
	s_wait_alu depctr_sa_sdst(0)
	s_sub_co_i32 s7, s6, s19
	s_cmp_ge_u32 s6, s19
	s_wait_alu depctr_sa_sdst(0)
	s_cselect_b32 s6, s7, s6
	s_wait_alu depctr_sa_sdst(0)
	s_xor_b32 s6, s6, s26
	s_wait_alu depctr_sa_sdst(0)
	s_sub_co_i32 s6, s6, s26
	.loc	1 25 53 is_stmt 1               ; matmul.py:25:53
	s_wait_alu depctr_sa_sdst(0)
	v_mad_co_u64_u32 v[2:3], null, s6, s23, v[1:2]
	.loc	1 0 0 is_stmt 0                 ; matmul.py:0
	s_mul_u64 s[6:7], s[2:3], s[10:11]
	.loc	1 25 22                         ; matmul.py:25:22
	v_ashrrev_i32_e32 v3, 31, v2
	s_delay_alu instid0(VALU_DEP_1) | instskip(NEXT) | instid1(VALU_DEP_1)
	v_lshlrev_b64_e32 v[121:122], 1, v[2:3]
	v_add_co_u32 v89, vcc_lo, s4, v121
	s_wait_alu depctr_va_vcc(0)
	s_delay_alu instid0(VALU_DEP_2)
	v_add_co_ci_u32_e64 v90, null, s5, v122, vcc_lo
	.loc	1 30 20 is_stmt 1               ; matmul.py:30:20
	s_and_saveexec_b32 s3, s28
	s_cbranch_execz .LBB0_26
; %bb.25:
	global_load_u16 v17, v[89:90], off
.LBB0_26:
	.loc	1 0 20 is_stmt 0                ; matmul.py:0:20
	s_wait_alu depctr_sa_sdst(0)
	s_or_b32 exec_lo, exec_lo, s3
	.loc	1 22 68 is_stmt 1               ; matmul.py:22:68
	s_mul_i32 s3, s7, s19
	.loc	1 0 0 is_stmt 0                 ; matmul.py:0
	s_add_co_i32 s7, s29, 0x44
	.loc	1 22 68                         ; matmul.py:22:68
	s_wait_alu depctr_sa_sdst(0)
	s_sub_co_i32 s2, s2, s3
	.loc	1 0 0                           ; matmul.py:0
	s_xor_b32 s6, s14, s26
	.loc	1 22 68                         ; matmul.py:22:68
	s_wait_alu depctr_sa_sdst(0)
	s_sub_co_i32 s3, s2, s19
	s_cmp_ge_u32 s2, s19
	s_wait_alu depctr_sa_sdst(0)
	s_cselect_b32 s2, s3, s2
	s_wait_alu depctr_sa_sdst(0)
	s_sub_co_i32 s3, s2, s19
	s_cmp_ge_u32 s2, s19
	s_wait_alu depctr_sa_sdst(0)
	s_cselect_b32 s2, s3, s2
	s_wait_alu depctr_sa_sdst(0)
	s_xor_b32 s2, s2, s26
	s_wait_alu depctr_sa_sdst(0)
	s_sub_co_i32 s2, s2, s26
	.loc	1 25 53 is_stmt 1               ; matmul.py:25:53
	s_wait_alu depctr_sa_sdst(0)
	v_mad_co_u64_u32 v[2:3], null, s2, s23, v[1:2]
	.loc	1 0 0 is_stmt 0                 ; matmul.py:0
	s_mul_u64 s[2:3], s[12:13], s[10:11]
	.loc	1 25 22                         ; matmul.py:25:22
	v_ashrrev_i32_e32 v3, 31, v2
	s_delay_alu instid0(VALU_DEP_1) | instskip(NEXT) | instid1(VALU_DEP_1)
	v_lshlrev_b64_e32 v[123:124], 1, v[2:3]
	v_add_co_u32 v91, vcc_lo, s4, v123
	s_wait_alu depctr_va_vcc(0)
	s_delay_alu instid0(VALU_DEP_2)
	v_add_co_ci_u32_e64 v92, null, s5, v124, vcc_lo
	.loc	1 30 20 is_stmt 1               ; matmul.py:30:20
	s_and_saveexec_b32 s2, s28
	s_cbranch_execz .LBB0_28
; %bb.27:
	global_load_u16 v16, v[91:92], off
.LBB0_28:
	.loc	1 0 20 is_stmt 0                ; matmul.py:0:20
	s_wait_alu depctr_sa_sdst(0)
	s_or_b32 exec_lo, exec_lo, s2
	.loc	1 22 68 is_stmt 1               ; matmul.py:22:68
	s_mul_i32 s2, s3, s19
	.loc	1 0 0 is_stmt 0                 ; matmul.py:0
	s_add_co_i32 s3, s29, 0x48
	.loc	1 22 68                         ; matmul.py:22:68
	s_wait_alu depctr_sa_sdst(0)
	s_sub_co_i32 s12, s12, s2
	.loc	1 0 0                           ; matmul.py:0
	s_xor_b32 s2, s7, s26
	.loc	1 22 68                         ; matmul.py:22:68
	s_sub_co_i32 s7, s12, s19
	s_cmp_ge_u32 s12, s19
	v_dual_mov_b32 v18, 0 :: v_dual_mov_b32 v19, 0
	s_wait_alu depctr_sa_sdst(0)
	s_cselect_b32 s7, s7, s12
	s_wait_alu depctr_sa_sdst(0)
	s_sub_co_i32 s12, s7, s19
	s_cmp_ge_u32 s7, s19
	s_cselect_b32 s7, s12, s7
	.loc	1 0 0                           ; matmul.py:0
	s_mul_u64 s[12:13], s[8:9], s[10:11]
	.loc	1 22 68                         ; matmul.py:22:68
	s_wait_alu depctr_sa_sdst(0)
	s_xor_b32 s7, s7, s26
	s_wait_alu depctr_sa_sdst(0)
	s_sub_co_i32 s7, s7, s26
	.loc	1 25 53 is_stmt 1               ; matmul.py:25:53
	s_wait_alu depctr_sa_sdst(0)
	v_mad_co_u64_u32 v[2:3], null, s7, s23, v[1:2]
	.loc	1 0 0 is_stmt 0                 ; matmul.py:0
	s_mov_b32 s7, s9
	.loc	1 25 22                         ; matmul.py:25:22
	v_ashrrev_i32_e32 v3, 31, v2
	s_delay_alu instid0(VALU_DEP_1) | instskip(NEXT) | instid1(VALU_DEP_1)
	v_lshlrev_b64_e32 v[125:126], 1, v[2:3]
	v_add_co_u32 v93, vcc_lo, s4, v125
	s_wait_alu depctr_va_vcc(0)
	s_delay_alu instid0(VALU_DEP_2)
	v_add_co_ci_u32_e64 v94, null, s5, v126, vcc_lo
	.loc	1 30 20 is_stmt 1               ; matmul.py:30:20
	s_and_saveexec_b32 s12, s28
	s_cbranch_execz .LBB0_30
; %bb.29:
	global_load_u16 v19, v[93:94], off
.LBB0_30:
	.loc	1 0 20 is_stmt 0                ; matmul.py:0:20
	s_or_b32 exec_lo, exec_lo, s12
	.loc	1 22 68 is_stmt 1               ; matmul.py:22:68
	s_mul_i32 s12, s13, s19
	.loc	1 0 0 is_stmt 0                 ; matmul.py:0
	s_add_co_i32 s13, s29, 0x4c
	.loc	1 22 68                         ; matmul.py:22:68
	s_sub_co_i32 s8, s8, s12
	.loc	1 0 0                           ; matmul.py:0
	s_xor_b32 s12, s3, s26
	.loc	1 22 68                         ; matmul.py:22:68
	s_sub_co_i32 s3, s8, s19
	s_cmp_ge_u32 s8, s19
	.loc	1 0 0                           ; matmul.py:0
	s_wait_alu depctr_sa_sdst(0)
	s_mul_u64 s[14:15], s[6:7], s[10:11]
	.loc	1 22 68                         ; matmul.py:22:68
	s_cselect_b32 s3, s3, s8
	s_wait_alu depctr_sa_sdst(0)
	s_sub_co_i32 s8, s3, s19
	s_cmp_ge_u32 s3, s19
	s_cselect_b32 s3, s8, s3
	s_wait_alu depctr_sa_sdst(0)
	s_xor_b32 s3, s3, s26
	s_wait_alu depctr_sa_sdst(0)
	s_sub_co_i32 s3, s3, s26
	.loc	1 25 53 is_stmt 1               ; matmul.py:25:53
	s_wait_alu depctr_sa_sdst(0)
	v_mad_co_u64_u32 v[2:3], null, s3, s23, v[1:2]
	.loc	1 0 0 is_stmt 0                 ; matmul.py:0
	s_mov_b32 s3, s9
	.loc	1 25 22                         ; matmul.py:25:22
	v_ashrrev_i32_e32 v3, 31, v2
	s_delay_alu instid0(VALU_DEP_1) | instskip(NEXT) | instid1(VALU_DEP_1)
	v_lshlrev_b64_e32 v[127:128], 1, v[2:3]
	v_add_co_u32 v95, vcc_lo, s4, v127
	s_wait_alu depctr_va_vcc(0)
	s_delay_alu instid0(VALU_DEP_2)
	v_add_co_ci_u32_e64 v96, null, s5, v128, vcc_lo
	.loc	1 30 20 is_stmt 1               ; matmul.py:30:20
	s_and_saveexec_b32 s7, s28
	s_cbranch_execz .LBB0_32
; %bb.31:
	global_load_u16 v18, v[95:96], off
.LBB0_32:
	.loc	1 0 20 is_stmt 0                ; matmul.py:0:20
	s_wait_alu depctr_sa_sdst(0)
	s_or_b32 exec_lo, exec_lo, s7
	.loc	1 22 68 is_stmt 1               ; matmul.py:22:68
	s_mul_i32 s7, s15, s19
	.loc	1 0 0 is_stmt 0                 ; matmul.py:0
	s_add_co_i32 s14, s29, 0x50
	.loc	1 22 68                         ; matmul.py:22:68
	s_wait_alu depctr_sa_sdst(0)
	s_sub_co_i32 s6, s6, s7
	.loc	1 0 0                           ; matmul.py:0
	s_xor_b32 s8, s13, s26
	.loc	1 22 68                         ; matmul.py:22:68
	s_wait_alu depctr_sa_sdst(0)
	s_sub_co_i32 s7, s6, s19
	s_cmp_ge_u32 s6, s19
	v_dual_mov_b32 v20, 0 :: v_dual_mov_b32 v21, 0
	s_wait_alu depctr_sa_sdst(0)
	s_cselect_b32 s6, s7, s6
	.loc	1 0 0                           ; matmul.py:0
	s_mov_b32 s13, s9
	.loc	1 22 68                         ; matmul.py:22:68
	s_wait_alu depctr_sa_sdst(0)
	s_sub_co_i32 s7, s6, s19
	s_cmp_ge_u32 s6, s19
	s_wait_alu depctr_sa_sdst(0)
	s_cselect_b32 s6, s7, s6
	s_wait_alu depctr_sa_sdst(0)
	s_xor_b32 s6, s6, s26
	s_wait_alu depctr_sa_sdst(0)
	s_sub_co_i32 s6, s6, s26
	.loc	1 25 53 is_stmt 1               ; matmul.py:25:53
	s_wait_alu depctr_sa_sdst(0)
	v_mad_co_u64_u32 v[2:3], null, s6, s23, v[1:2]
	.loc	1 0 0 is_stmt 0                 ; matmul.py:0
	s_mul_u64 s[6:7], s[2:3], s[10:11]
	.loc	1 25 22                         ; matmul.py:25:22
	v_ashrrev_i32_e32 v3, 31, v2
	s_delay_alu instid0(VALU_DEP_1) | instskip(NEXT) | instid1(VALU_DEP_1)
	v_lshlrev_b64_e32 v[129:130], 1, v[2:3]
	v_add_co_u32 v193, vcc_lo, s4, v129
	s_wait_alu depctr_va_vcc(0)
	s_delay_alu instid0(VALU_DEP_2)
	v_add_co_ci_u32_e64 v194, null, s5, v130, vcc_lo
	.loc	1 30 20 is_stmt 1               ; matmul.py:30:20
	s_and_saveexec_b32 s3, s28
	s_cbranch_execz .LBB0_34
; %bb.33:
	global_load_u16 v21, v[193:194], off
.LBB0_34:
	.loc	1 0 20 is_stmt 0                ; matmul.py:0:20
	s_wait_alu depctr_sa_sdst(0)
	s_or_b32 exec_lo, exec_lo, s3
	.loc	1 22 68 is_stmt 1               ; matmul.py:22:68
	s_mul_i32 s3, s7, s19
	.loc	1 0 0 is_stmt 0                 ; matmul.py:0
	s_add_co_i32 s7, s29, 0x54
	.loc	1 22 68                         ; matmul.py:22:68
	s_wait_alu depctr_sa_sdst(0)
	s_sub_co_i32 s2, s2, s3
	.loc	1 0 0                           ; matmul.py:0
	s_xor_b32 s6, s14, s26
	.loc	1 22 68                         ; matmul.py:22:68
	s_wait_alu depctr_sa_sdst(0)
	s_sub_co_i32 s3, s2, s19
	s_cmp_ge_u32 s2, s19
	s_wait_alu depctr_sa_sdst(0)
	s_cselect_b32 s2, s3, s2
	s_wait_alu depctr_sa_sdst(0)
	s_sub_co_i32 s3, s2, s19
	s_cmp_ge_u32 s2, s19
	s_wait_alu depctr_sa_sdst(0)
	s_cselect_b32 s2, s3, s2
	s_wait_alu depctr_sa_sdst(0)
	s_xor_b32 s2, s2, s26
	s_wait_alu depctr_sa_sdst(0)
	s_sub_co_i32 s2, s2, s26
	.loc	1 25 53 is_stmt 1               ; matmul.py:25:53
	s_wait_alu depctr_sa_sdst(0)
	v_mad_co_u64_u32 v[2:3], null, s2, s23, v[1:2]
	.loc	1 0 0 is_stmt 0                 ; matmul.py:0
	s_mul_u64 s[2:3], s[12:13], s[10:11]
	.loc	1 25 22                         ; matmul.py:25:22
	v_ashrrev_i32_e32 v3, 31, v2
	s_delay_alu instid0(VALU_DEP_1) | instskip(NEXT) | instid1(VALU_DEP_1)
	v_lshlrev_b64_e32 v[131:132], 1, v[2:3]
	v_add_co_u32 v195, vcc_lo, s4, v131
	s_wait_alu depctr_va_vcc(0)
	s_delay_alu instid0(VALU_DEP_2)
	v_add_co_ci_u32_e64 v196, null, s5, v132, vcc_lo
	.loc	1 30 20 is_stmt 1               ; matmul.py:30:20
	s_and_saveexec_b32 s2, s28
	s_cbranch_execz .LBB0_36
; %bb.35:
	global_load_u16 v20, v[195:196], off
.LBB0_36:
	.loc	1 0 20 is_stmt 0                ; matmul.py:0:20
	s_wait_alu depctr_sa_sdst(0)
	s_or_b32 exec_lo, exec_lo, s2
	.loc	1 22 68 is_stmt 1               ; matmul.py:22:68
	s_mul_i32 s2, s3, s19
	.loc	1 0 0 is_stmt 0                 ; matmul.py:0
	s_add_co_i32 s3, s29, 0x58
	.loc	1 22 68                         ; matmul.py:22:68
	s_wait_alu depctr_sa_sdst(0)
	s_sub_co_i32 s12, s12, s2
	.loc	1 0 0                           ; matmul.py:0
	s_xor_b32 s2, s7, s26
	.loc	1 22 68                         ; matmul.py:22:68
	s_sub_co_i32 s7, s12, s19
	s_cmp_ge_u32 s12, s19
	v_dual_mov_b32 v22, 0 :: v_dual_mov_b32 v23, 0
	s_wait_alu depctr_sa_sdst(0)
	s_cselect_b32 s7, s7, s12
	s_wait_alu depctr_sa_sdst(0)
	s_sub_co_i32 s12, s7, s19
	s_cmp_ge_u32 s7, s19
	s_cselect_b32 s7, s12, s7
	.loc	1 0 0                           ; matmul.py:0
	s_mul_u64 s[12:13], s[8:9], s[10:11]
	.loc	1 22 68                         ; matmul.py:22:68
	s_wait_alu depctr_sa_sdst(0)
	s_xor_b32 s7, s7, s26
	s_wait_alu depctr_sa_sdst(0)
	s_sub_co_i32 s7, s7, s26
	.loc	1 25 53 is_stmt 1               ; matmul.py:25:53
	s_wait_alu depctr_sa_sdst(0)
	v_mad_co_u64_u32 v[2:3], null, s7, s23, v[1:2]
	.loc	1 0 0 is_stmt 0                 ; matmul.py:0
	s_mov_b32 s7, s9
	.loc	1 25 22                         ; matmul.py:25:22
	v_ashrrev_i32_e32 v3, 31, v2
	s_delay_alu instid0(VALU_DEP_1) | instskip(NEXT) | instid1(VALU_DEP_1)
	v_lshlrev_b64_e32 v[133:134], 1, v[2:3]
	v_add_co_u32 v197, vcc_lo, s4, v133
	s_wait_alu depctr_va_vcc(0)
	s_delay_alu instid0(VALU_DEP_2)
	v_add_co_ci_u32_e64 v198, null, s5, v134, vcc_lo
	.loc	1 30 20 is_stmt 1               ; matmul.py:30:20
	s_and_saveexec_b32 s12, s28
	s_cbranch_execz .LBB0_38
; %bb.37:
	global_load_u16 v23, v[197:198], off
.LBB0_38:
	.loc	1 0 20 is_stmt 0                ; matmul.py:0:20
	s_or_b32 exec_lo, exec_lo, s12
	.loc	1 22 68 is_stmt 1               ; matmul.py:22:68
	s_mul_i32 s12, s13, s19
	.loc	1 0 0 is_stmt 0                 ; matmul.py:0
	s_add_co_i32 s15, s29, 0x5c
	.loc	1 22 68                         ; matmul.py:22:68
	s_sub_co_i32 s8, s8, s12
	.loc	1 0 0                           ; matmul.py:0
	s_xor_b32 s14, s3, s26
	.loc	1 22 68                         ; matmul.py:22:68
	s_sub_co_i32 s3, s8, s19
	s_cmp_ge_u32 s8, s19
	.loc	1 0 0                           ; matmul.py:0
	s_wait_alu depctr_sa_sdst(0)
	s_mul_u64 s[12:13], s[6:7], s[10:11]
	.loc	1 22 68                         ; matmul.py:22:68
	s_cselect_b32 s3, s3, s8
	s_wait_alu depctr_sa_sdst(0)
	s_sub_co_i32 s8, s3, s19
	s_cmp_ge_u32 s3, s19
	s_cselect_b32 s3, s8, s3
	s_wait_alu depctr_sa_sdst(0)
	s_xor_b32 s3, s3, s26
	s_wait_alu depctr_sa_sdst(0)
	s_sub_co_i32 s3, s3, s26
	.loc	1 25 53 is_stmt 1               ; matmul.py:25:53
	s_wait_alu depctr_sa_sdst(0)
	v_mad_co_u64_u32 v[2:3], null, s3, s23, v[1:2]
	.loc	1 0 0 is_stmt 0                 ; matmul.py:0
	s_mov_b32 s3, s9
	.loc	1 25 22                         ; matmul.py:25:22
	v_ashrrev_i32_e32 v3, 31, v2
	s_delay_alu instid0(VALU_DEP_1) | instskip(NEXT) | instid1(VALU_DEP_1)
	v_lshlrev_b64_e32 v[135:136], 1, v[2:3]
	v_add_co_u32 v199, vcc_lo, s4, v135
	s_wait_alu depctr_va_vcc(0)
	s_delay_alu instid0(VALU_DEP_2)
	v_add_co_ci_u32_e64 v200, null, s5, v136, vcc_lo
	.loc	1 30 20 is_stmt 1               ; matmul.py:30:20
	s_and_saveexec_b32 s7, s28
	s_cbranch_execz .LBB0_40
; %bb.39:
	global_load_u16 v22, v[199:200], off
.LBB0_40:
	.loc	1 0 20 is_stmt 0                ; matmul.py:0:20
	s_wait_alu depctr_sa_sdst(0)
	s_or_b32 exec_lo, exec_lo, s7
	.loc	1 22 68 is_stmt 1               ; matmul.py:22:68
	s_mul_i32 s7, s13, s19
	.loc	1 0 0 is_stmt 0                 ; matmul.py:0
	s_add_co_i32 s12, s29, 0x60
	.loc	1 22 68                         ; matmul.py:22:68
	s_wait_alu depctr_sa_sdst(0)
	s_sub_co_i32 s6, s6, s7
	.loc	1 0 0                           ; matmul.py:0
	s_xor_b32 s8, s15, s26
	.loc	1 22 68                         ; matmul.py:22:68
	s_wait_alu depctr_sa_sdst(0)
	s_sub_co_i32 s7, s6, s19
	s_cmp_ge_u32 s6, s19
	v_dual_mov_b32 v24, 0 :: v_dual_mov_b32 v25, 0
	s_wait_alu depctr_sa_sdst(0)
	s_cselect_b32 s6, s7, s6
	.loc	1 0 0                           ; matmul.py:0
	s_mov_b32 s15, s9
	.loc	1 22 68                         ; matmul.py:22:68
	s_wait_alu depctr_sa_sdst(0)
	s_sub_co_i32 s7, s6, s19
	s_cmp_ge_u32 s6, s19
	s_wait_alu depctr_sa_sdst(0)
	s_cselect_b32 s6, s7, s6
	s_wait_alu depctr_sa_sdst(0)
	s_xor_b32 s6, s6, s26
	s_wait_alu depctr_sa_sdst(0)
	s_sub_co_i32 s6, s6, s26
	.loc	1 25 53 is_stmt 1               ; matmul.py:25:53
	s_wait_alu depctr_sa_sdst(0)
	v_mad_co_u64_u32 v[2:3], null, s6, s23, v[1:2]
	.loc	1 0 0 is_stmt 0                 ; matmul.py:0
	s_mul_u64 s[6:7], s[2:3], s[10:11]
	.loc	1 25 22                         ; matmul.py:25:22
	v_ashrrev_i32_e32 v3, 31, v2
	s_delay_alu instid0(VALU_DEP_1) | instskip(NEXT) | instid1(VALU_DEP_1)
	v_lshlrev_b64_e32 v[137:138], 1, v[2:3]
	v_add_co_u32 v201, vcc_lo, s4, v137
	s_wait_alu depctr_va_vcc(0)
	s_delay_alu instid0(VALU_DEP_2)
	v_add_co_ci_u32_e64 v202, null, s5, v138, vcc_lo
	.loc	1 30 20 is_stmt 1               ; matmul.py:30:20
	s_and_saveexec_b32 s3, s28
	s_cbranch_execz .LBB0_42
; %bb.41:
	global_load_u16 v25, v[201:202], off
.LBB0_42:
	.loc	1 0 20 is_stmt 0                ; matmul.py:0:20
	s_wait_alu depctr_sa_sdst(0)
	s_or_b32 exec_lo, exec_lo, s3
	.loc	1 22 68 is_stmt 1               ; matmul.py:22:68
	s_mul_i32 s3, s7, s19
	.loc	1 0 0 is_stmt 0                 ; matmul.py:0
	s_add_co_i32 s6, s29, 0x64
	.loc	1 22 68                         ; matmul.py:22:68
	s_wait_alu depctr_sa_sdst(0)
	s_sub_co_i32 s2, s2, s3
	.loc	1 0 0                           ; matmul.py:0
	s_xor_b32 s12, s12, s26
	.loc	1 22 68                         ; matmul.py:22:68
	s_wait_alu depctr_sa_sdst(0)
	s_sub_co_i32 s3, s2, s19
	s_cmp_ge_u32 s2, s19
	s_wait_alu depctr_sa_sdst(0)
	s_cselect_b32 s2, s3, s2
	s_wait_alu depctr_sa_sdst(0)
	s_sub_co_i32 s3, s2, s19
	s_cmp_ge_u32 s2, s19
	s_wait_alu depctr_sa_sdst(0)
	s_cselect_b32 s2, s3, s2
	s_wait_alu depctr_sa_sdst(0)
	s_xor_b32 s2, s2, s26
	s_wait_alu depctr_sa_sdst(0)
	s_sub_co_i32 s2, s2, s26
	.loc	1 25 53 is_stmt 1               ; matmul.py:25:53
	s_wait_alu depctr_sa_sdst(0)
	v_mad_co_u64_u32 v[2:3], null, s2, s23, v[1:2]
	.loc	1 0 0 is_stmt 0                 ; matmul.py:0
	s_mul_u64 s[2:3], s[14:15], s[10:11]
	.loc	1 25 22                         ; matmul.py:25:22
	v_ashrrev_i32_e32 v3, 31, v2
	s_delay_alu instid0(VALU_DEP_1) | instskip(NEXT) | instid1(VALU_DEP_1)
	v_lshlrev_b64_e32 v[139:140], 1, v[2:3]
	v_add_co_u32 v203, vcc_lo, s4, v139
	s_wait_alu depctr_va_vcc(0)
	s_delay_alu instid0(VALU_DEP_2)
	v_add_co_ci_u32_e64 v204, null, s5, v140, vcc_lo
	.loc	1 30 20 is_stmt 1               ; matmul.py:30:20
	s_and_saveexec_b32 s2, s28
	s_cbranch_execz .LBB0_44
; %bb.43:
	global_load_u16 v24, v[203:204], off
.LBB0_44:
	.loc	1 0 20 is_stmt 0                ; matmul.py:0:20
	s_wait_alu depctr_sa_sdst(0)
	s_or_b32 exec_lo, exec_lo, s2
	.loc	1 22 68 is_stmt 1               ; matmul.py:22:68
	s_mul_i32 s2, s3, s19
	.loc	1 0 0 is_stmt 0                 ; matmul.py:0
	s_add_co_i32 s3, s29, 0x68
	.loc	1 22 68                         ; matmul.py:22:68
	s_wait_alu depctr_sa_sdst(0)
	s_sub_co_i32 s7, s14, s2
	.loc	1 0 0                           ; matmul.py:0
	s_xor_b32 s2, s6, s26
	.loc	1 22 68                         ; matmul.py:22:68
	s_wait_alu depctr_sa_sdst(0)
	s_sub_co_i32 s6, s7, s19
	s_cmp_ge_u32 s7, s19
	v_dual_mov_b32 v26, 0 :: v_dual_mov_b32 v27, 0
	s_wait_alu depctr_sa_sdst(0)
	s_cselect_b32 s6, s6, s7
	.loc	1 0 0                           ; matmul.py:0
	s_mov_b32 s13, s9
	.loc	1 22 68                         ; matmul.py:22:68
	s_wait_alu depctr_sa_sdst(0)
	s_sub_co_i32 s7, s6, s19
	s_cmp_ge_u32 s6, s19
	s_wait_alu depctr_sa_sdst(0)
	s_cselect_b32 s6, s7, s6
	s_wait_alu depctr_sa_sdst(0)
	s_xor_b32 s6, s6, s26
	s_wait_alu depctr_sa_sdst(0)
	s_sub_co_i32 s6, s6, s26
	.loc	1 25 53 is_stmt 1               ; matmul.py:25:53
	s_wait_alu depctr_sa_sdst(0)
	v_mad_co_u64_u32 v[2:3], null, s6, s23, v[1:2]
	.loc	1 0 0 is_stmt 0                 ; matmul.py:0
	s_mul_u64 s[6:7], s[8:9], s[10:11]
	.loc	1 25 22                         ; matmul.py:25:22
	v_ashrrev_i32_e32 v3, 31, v2
	s_delay_alu instid0(VALU_DEP_1) | instskip(NEXT) | instid1(VALU_DEP_1)
	v_lshlrev_b64_e32 v[141:142], 1, v[2:3]
	v_add_co_u32 v205, vcc_lo, s4, v141
	s_wait_alu depctr_va_vcc(0)
	s_delay_alu instid0(VALU_DEP_2)
	v_add_co_ci_u32_e64 v206, null, s5, v142, vcc_lo
	.loc	1 30 20 is_stmt 1               ; matmul.py:30:20
	s_and_saveexec_b32 s6, s28
	s_cbranch_execz .LBB0_46
; %bb.45:
	global_load_u16 v27, v[205:206], off
.LBB0_46:
	.loc	1 0 20 is_stmt 0                ; matmul.py:0:20
	s_wait_alu depctr_sa_sdst(0)
	s_or_b32 exec_lo, exec_lo, s6
	.loc	1 22 68 is_stmt 1               ; matmul.py:22:68
	s_mul_i32 s6, s7, s19
	s_lshl_b32 s25, s18, 5
	s_wait_alu depctr_sa_sdst(0)
	s_sub_co_i32 s8, s8, s6
	.loc	1 0 0 is_stmt 0                 ; matmul.py:0
	s_add_co_i32 s7, s29, 0x6c
	s_xor_b32 s6, s3, s26
	.loc	1 22 68                         ; matmul.py:22:68
	s_sub_co_i32 s3, s8, s19
	s_cmp_ge_u32 s8, s19
	.loc	1 0 0                           ; matmul.py:0
	s_mul_u64 s[14:15], s[12:13], s[10:11]
	.loc	1 22 68                         ; matmul.py:22:68
	s_wait_alu depctr_sa_sdst(0)
	s_cselect_b32 s3, s3, s8
	s_wait_alu depctr_sa_sdst(0)
	s_sub_co_i32 s8, s3, s19
	s_cmp_ge_u32 s3, s19
	s_cselect_b32 s3, s8, s3
	s_wait_alu depctr_sa_sdst(0)
	s_xor_b32 s3, s3, s26
	s_wait_alu depctr_sa_sdst(0)
	s_sub_co_i32 s3, s3, s26
	.loc	1 25 53 is_stmt 1               ; matmul.py:25:53
	s_wait_alu depctr_sa_sdst(0)
	v_mad_co_u64_u32 v[2:3], null, s3, s23, v[1:2]
	.loc	1 0 0 is_stmt 0                 ; matmul.py:0
	s_mov_b32 s3, s9
	.loc	1 25 22                         ; matmul.py:25:22
	v_ashrrev_i32_e32 v3, 31, v2
	s_delay_alu instid0(VALU_DEP_1) | instskip(NEXT) | instid1(VALU_DEP_1)
	v_lshlrev_b64_e32 v[143:144], 1, v[2:3]
	v_add_co_u32 v207, vcc_lo, s4, v143
	s_wait_alu depctr_va_vcc(0)
	s_delay_alu instid0(VALU_DEP_2)
	v_add_co_ci_u32_e64 v208, null, s5, v144, vcc_lo
	.loc	1 30 20 is_stmt 1               ; matmul.py:30:20
	s_and_saveexec_b32 s8, s28
	s_cbranch_execz .LBB0_48
; %bb.47:
	global_load_u16 v26, v[207:208], off
.LBB0_48:
	.loc	1 0 20 is_stmt 0                ; matmul.py:0:20
	s_or_b32 exec_lo, exec_lo, s8
	.loc	1 22 68 is_stmt 1               ; matmul.py:22:68
	s_mul_i32 s8, s15, s19
	.loc	1 0 0 is_stmt 0                 ; matmul.py:0
	s_add_co_i32 s14, s29, 0x70
	.loc	1 22 68                         ; matmul.py:22:68
	s_sub_co_i32 s12, s12, s8
	.loc	1 0 0                           ; matmul.py:0
	s_xor_b32 s8, s7, s26
	.loc	1 22 68                         ; matmul.py:22:68
	s_sub_co_i32 s7, s12, s19
	s_cmp_ge_u32 s12, s19
	v_or_b32_e32 v53, s25, v104
	s_wait_alu depctr_sa_sdst(0)
	s_cselect_b32 s7, s7, s12
	v_dual_mov_b32 v28, 0 :: v_dual_mov_b32 v29, 0
	s_wait_alu depctr_sa_sdst(0)
	s_sub_co_i32 s12, s7, s19
	s_cmp_ge_u32 s7, s19
	s_mul_f32 s31, s24, 0x4f7ffffe
	s_cselect_b32 s7, s12, s7
	.loc	1 0 0                           ; matmul.py:0
	s_mul_u64 s[12:13], s[2:3], s[10:11]
	.loc	1 22 68                         ; matmul.py:22:68
	s_wait_alu depctr_sa_sdst(0)
	s_xor_b32 s7, s7, s26
	s_wait_alu depctr_sa_sdst(0)
	s_sub_co_i32 s7, s7, s26
	.loc	1 25 53 is_stmt 1               ; matmul.py:25:53
	s_wait_alu depctr_sa_sdst(0)
	v_mad_co_u64_u32 v[2:3], null, s7, s23, v[1:2]
	.loc	1 0 0 is_stmt 0                 ; matmul.py:0
	s_mov_b32 s7, s9
	.loc	1 25 22                         ; matmul.py:25:22
	v_ashrrev_i32_e32 v3, 31, v2
	s_delay_alu instid0(VALU_DEP_1) | instskip(NEXT) | instid1(VALU_DEP_1)
	v_lshlrev_b64_e32 v[145:146], 1, v[2:3]
	v_add_co_u32 v209, vcc_lo, s4, v145
	s_wait_alu depctr_va_vcc(0)
	s_delay_alu instid0(VALU_DEP_2)
	v_add_co_ci_u32_e64 v210, null, s5, v146, vcc_lo
	.loc	1 30 20 is_stmt 1               ; matmul.py:30:20
	s_and_saveexec_b32 s3, s28
	s_cbranch_execz .LBB0_50
; %bb.49:
	global_load_u16 v29, v[209:210], off
.LBB0_50:
	.loc	1 0 20 is_stmt 0                ; matmul.py:0:20
	s_wait_alu depctr_sa_sdst(0)
	s_or_b32 exec_lo, exec_lo, s3
	.loc	1 22 68 is_stmt 1               ; matmul.py:22:68
	s_mul_i32 s12, s13, s19
	s_lshl_b32 s24, s30, 6
	s_sub_co_i32 s12, s2, s12
	s_sub_co_i32 s3, 0, s27
	.loc	1 0 0 is_stmt 0                 ; matmul.py:0
	s_add_co_i32 s15, s29, 0x74
	s_xor_b32 s2, s14, s26
	.loc	1 22 68                         ; matmul.py:22:68
	s_sub_co_i32 s13, s12, s19
	s_cmp_ge_u32 s12, s19
	v_and_b32_e32 v52, 63, v53
	s_cselect_b32 s12, s13, s12
	s_cvt_u32_f32 s31, s31
	s_sub_co_i32 s13, s12, s19
	s_cmp_ge_u32 s12, s19
	s_cselect_b32 s12, s13, s12
	s_delay_alu instid0(SALU_CYCLE_1) | instskip(NEXT) | instid1(SALU_CYCLE_1)
	s_xor_b32 s12, s12, s26
	s_sub_co_i32 s12, s12, s26
	s_delay_alu instid0(SALU_CYCLE_1) | instskip(SKIP_2) | instid1(VALU_DEP_1)
	.loc	1 25 53 is_stmt 1               ; matmul.py:25:53
	v_mad_co_u64_u32 v[2:3], null, s12, s23, v[1:2]
	.loc	1 0 0 is_stmt 0                 ; matmul.py:0
	s_mul_u64 s[12:13], s[6:7], s[10:11]
	.loc	1 25 22                         ; matmul.py:25:22
	v_ashrrev_i32_e32 v3, 31, v2
	v_lshlrev_b64_e32 v[147:148], 1, v[2:3]
	s_delay_alu instid0(VALU_DEP_1) | instskip(SKIP_1) | instid1(VALU_DEP_2)
	v_add_co_u32 v211, vcc_lo, s4, v147
	s_wait_alu depctr_va_vcc(0)
	v_add_co_ci_u32_e64 v212, null, s5, v148, vcc_lo
	.loc	1 30 20 is_stmt 1               ; matmul.py:30:20
	s_and_saveexec_b32 s7, s28
	s_cbranch_execz .LBB0_52
; %bb.51:
	global_load_u16 v28, v[211:212], off
.LBB0_52:
	.loc	1 0 20 is_stmt 0                ; matmul.py:0:20
	s_wait_alu depctr_sa_sdst(0)
	s_or_b32 exec_lo, exec_lo, s7
	.loc	1 22 68 is_stmt 1               ; matmul.py:22:68
	s_mul_i32 s12, s13, s19
	s_bfe_i32 s30, s30, 0x10019
	s_wait_alu depctr_sa_sdst(0)
	s_sub_co_i32 s12, s6, s12
	.loc	1 0 0 is_stmt 0                 ; matmul.py:0
	s_add_co_i32 s7, s29, 0x78
	s_xor_b32 s6, s15, s26
	.loc	1 22 68                         ; matmul.py:22:68
	s_wait_alu depctr_sa_sdst(0)
	s_sub_co_i32 s13, s12, s19
	s_cmp_ge_u32 s12, s19
	v_dual_mov_b32 v30, 0 :: v_dual_mov_b32 v31, 0
	s_wait_alu depctr_sa_sdst(0)
	s_cselect_b32 s12, s13, s12
	s_mul_i32 s33, s3, s31
	s_wait_alu depctr_sa_sdst(0)
	s_sub_co_i32 s13, s12, s19
	s_cmp_ge_u32 s12, s19
	.loc	1 0 0                           ; matmul.py:0
	s_mov_b32 s3, s9
	.loc	1 22 68                         ; matmul.py:22:68
	s_wait_alu depctr_sa_sdst(0)
	s_cselect_b32 s12, s13, s12
	s_wait_alu depctr_sa_sdst(0)
	s_xor_b32 s12, s12, s26
	s_wait_alu depctr_sa_sdst(0)
	s_sub_co_i32 s12, s12, s26
	.loc	1 25 53 is_stmt 1               ; matmul.py:25:53
	s_wait_alu depctr_sa_sdst(0)
	v_mad_co_u64_u32 v[2:3], null, s12, s23, v[1:2]
	.loc	1 0 0 is_stmt 0                 ; matmul.py:0
	s_mul_u64 s[12:13], s[8:9], s[10:11]
	.loc	1 25 22                         ; matmul.py:25:22
	v_ashrrev_i32_e32 v3, 31, v2
	s_delay_alu instid0(VALU_DEP_1) | instskip(SKIP_1) | instid1(VALU_DEP_2)
	v_lshlrev_b64_e32 v[149:150], 1, v[2:3]
	v_or_b32_e32 v2, s24, v52
	v_add_co_u32 v213, vcc_lo, s4, v149
	s_wait_alu depctr_va_vcc(0)
	s_delay_alu instid0(VALU_DEP_3)
	v_add_co_ci_u32_e64 v214, null, s5, v150, vcc_lo
	.loc	1 30 20 is_stmt 1               ; matmul.py:30:20
	s_and_saveexec_b32 s12, s28
	s_cbranch_execz .LBB0_54
; %bb.53:
	global_load_u16 v31, v[213:214], off
.LBB0_54:
	.loc	1 0 20 is_stmt 0                ; matmul.py:0:20
	s_wait_alu depctr_sa_sdst(0)
	s_or_b32 exec_lo, exec_lo, s12
	.loc	1 22 68 is_stmt 1               ; matmul.py:22:68
	s_mul_i32 s12, s13, s19
	.loc	1 0 0 is_stmt 0                 ; matmul.py:0
	s_addk_co_i32 s29, 0x7c
	.loc	1 22 68                         ; matmul.py:22:68
	s_wait_alu depctr_sa_sdst(0)
	s_sub_co_i32 s8, s8, s12
	.loc	1 0 0                           ; matmul.py:0
	s_xor_b32 s12, s7, s26
	.loc	1 22 68                         ; matmul.py:22:68
	s_sub_co_i32 s7, s8, s19
	s_cmp_ge_u32 s8, s19
	.loc	1 0 0                           ; matmul.py:0
	s_mul_u64 s[14:15], s[2:3], s[10:11]
	.loc	1 22 68                         ; matmul.py:22:68
	s_wait_alu depctr_sa_sdst(0)
	s_cselect_b32 s7, s7, s8
	.loc	1 0 0                           ; matmul.py:0
	s_mul_hi_u32 s3, s31, s33
	.loc	1 22 68                         ; matmul.py:22:68
	s_wait_alu depctr_sa_sdst(0)
	s_sub_co_i32 s8, s7, s19
	s_cmp_ge_u32 s7, s19
	s_cselect_b32 s7, s8, s7
	s_wait_alu depctr_sa_sdst(0)
	s_xor_b32 s7, s7, s26
	s_wait_alu depctr_sa_sdst(0)
	s_sub_co_i32 s7, s7, s26
	.loc	1 25 53 is_stmt 1               ; matmul.py:25:53
	s_wait_alu depctr_sa_sdst(0)
	v_mad_co_u64_u32 v[32:33], null, s7, s23, v[1:2]
	.loc	1 0 0 is_stmt 0                 ; matmul.py:0
	v_add_nc_u32_e32 v2, s30, v2
	s_mov_b32 s7, s9
	s_delay_alu instid0(VALU_DEP_2) | instskip(NEXT) | instid1(VALU_DEP_1)
	.loc	1 25 22                         ; matmul.py:25:22
	v_ashrrev_i32_e32 v33, 31, v32
	v_lshlrev_b64_e32 v[151:152], 1, v[32:33]
	s_delay_alu instid0(VALU_DEP_1) | instskip(SKIP_1) | instid1(VALU_DEP_2)
	v_add_co_u32 v215, vcc_lo, s4, v151
	s_wait_alu depctr_va_vcc(0)
	v_add_co_ci_u32_e64 v216, null, s5, v152, vcc_lo
	.loc	1 30 20 is_stmt 1               ; matmul.py:30:20
	s_and_saveexec_b32 s8, s28
	s_cbranch_execz .LBB0_56
; %bb.55:
	global_load_u16 v30, v[215:216], off
.LBB0_56:
	.loc	1 0 20 is_stmt 0                ; matmul.py:0:20
	s_or_b32 exec_lo, exec_lo, s8
	.loc	1 22 68 is_stmt 1               ; matmul.py:22:68
	s_mul_i32 s8, s15, s19
	.loc	1 0 0 is_stmt 0                 ; matmul.py:0
	s_add_co_i32 s31, s31, s3
	.loc	1 22 68                         ; matmul.py:22:68
	s_sub_co_i32 s2, s2, s8
	.loc	1 0 0                           ; matmul.py:0
	s_xor_b32 s8, s29, s26
	.loc	1 22 68                         ; matmul.py:22:68
	s_wait_alu depctr_sa_sdst(0)
	s_sub_co_i32 s3, s2, s19
	s_cmp_ge_u32 s2, s19
	.loc	1 0 0                           ; matmul.py:0
	v_xor_b32_e32 v36, s30, v2
	.loc	1 22 68                         ; matmul.py:22:68
	s_wait_alu depctr_sa_sdst(0)
	s_cselect_b32 s2, s3, s2
	.loc	1 0 0                           ; matmul.py:0
	s_mov_b32 s13, s9
	.loc	1 22 68                         ; matmul.py:22:68
	s_wait_alu depctr_sa_sdst(0)
	s_sub_co_i32 s3, s2, s19
	s_cmp_ge_u32 s2, s19
	s_wait_alu depctr_sa_sdst(0)
	s_cselect_b32 s2, s3, s2
	s_wait_alu depctr_sa_sdst(0)
	s_xor_b32 s2, s2, s26
	s_wait_alu depctr_sa_sdst(0)
	s_sub_co_i32 s2, s2, s26
	.loc	1 25 53 is_stmt 1               ; matmul.py:25:53
	s_wait_alu depctr_sa_sdst(0)
	v_mad_co_u64_u32 v[32:33], null, s2, s23, v[1:2]
	.loc	1 0 0 is_stmt 0                 ; matmul.py:0
	s_mul_u64 s[2:3], s[6:7], s[10:11]
	.loc	1 25 22                         ; matmul.py:25:22
	v_ashrrev_i32_e32 v33, 31, v32
	s_delay_alu instid0(VALU_DEP_1) | instskip(SKIP_1) | instid1(VALU_DEP_2)
	v_lshlrev_b64_e32 v[153:154], 1, v[32:33]
	v_dual_mov_b32 v32, 0 :: v_dual_mov_b32 v33, 0
	v_add_co_u32 v217, vcc_lo, s4, v153
	s_wait_alu depctr_va_vcc(0)
	s_delay_alu instid0(VALU_DEP_3)
	v_add_co_ci_u32_e64 v218, null, s5, v154, vcc_lo
	.loc	1 30 20 is_stmt 1               ; matmul.py:30:20
	s_and_saveexec_b32 s2, s28
	s_cbranch_execz .LBB0_58
; %bb.57:
	global_load_u16 v33, v[217:218], off
.LBB0_58:
	.loc	1 0 20 is_stmt 0                ; matmul.py:0:20
	s_wait_alu depctr_sa_sdst(0)
	s_or_b32 exec_lo, exec_lo, s2
	.loc	1 22 68 is_stmt 1               ; matmul.py:22:68
	s_mul_i32 s2, s3, s19
	s_wait_alu depctr_sa_sdst(0)
	s_sub_co_i32 s2, s6, s2
	s_wait_alu depctr_sa_sdst(0)
	s_sub_co_i32 s3, s2, s19
	s_cmp_ge_u32 s2, s19
	s_wait_alu depctr_sa_sdst(0)
	s_cselect_b32 s2, s3, s2
	s_wait_alu depctr_sa_sdst(0)
	s_sub_co_i32 s3, s2, s19
	s_cmp_ge_u32 s2, s19
	s_wait_alu depctr_sa_sdst(0)
	s_cselect_b32 s2, s3, s2
	s_wait_alu depctr_sa_sdst(0)
	s_xor_b32 s2, s2, s26
	s_wait_alu depctr_sa_sdst(0)
	s_sub_co_i32 s2, s2, s26
	.loc	1 25 53                         ; matmul.py:25:53
	s_wait_alu depctr_sa_sdst(0)
	v_mad_co_u64_u32 v[2:3], null, s2, s23, v[1:2]
	.loc	1 0 0 is_stmt 0                 ; matmul.py:0
	s_mul_u64 s[2:3], s[12:13], s[10:11]
	.loc	1 25 22                         ; matmul.py:25:22
	v_ashrrev_i32_e32 v3, 31, v2
	s_delay_alu instid0(VALU_DEP_1) | instskip(SKIP_1) | instid1(VALU_DEP_2)
	v_lshlrev_b64_e32 v[155:156], 1, v[2:3]
	.loc	1 0 0                           ; matmul.py:0
	v_mad_co_u64_u32 v[2:3], null, v36, s31, 0
	.loc	1 25 22                         ; matmul.py:25:22
	v_add_co_u32 v219, vcc_lo, s4, v155
	s_wait_alu depctr_va_vcc(0)
	s_delay_alu instid0(VALU_DEP_3)
	v_add_co_ci_u32_e64 v220, null, s5, v156, vcc_lo
	.loc	1 30 20 is_stmt 1               ; matmul.py:30:20
	s_and_saveexec_b32 s2, s28
	s_cbranch_execz .LBB0_60
; %bb.59:
	global_load_u16 v32, v[219:220], off
.LBB0_60:
	.loc	1 0 20 is_stmt 0                ; matmul.py:0:20
	s_wait_alu depctr_sa_sdst(0)
	s_or_b32 exec_lo, exec_lo, s2
	.loc	1 22 68 is_stmt 1               ; matmul.py:22:68
	s_mul_i32 s2, s3, s19
	s_load_b64 s[6:7], s[0:1], 0x8
	s_sub_co_i32 s2, s12, s2
	s_wait_alu depctr_sa_sdst(0)
	s_sub_co_i32 s3, s2, s19
	s_cmp_ge_u32 s2, s19
	s_wait_alu depctr_sa_sdst(0)
	s_cselect_b32 s2, s3, s2
	s_wait_alu depctr_sa_sdst(0)
	s_sub_co_i32 s3, s2, s19
	s_cmp_ge_u32 s2, s19
	s_wait_alu depctr_sa_sdst(0)
	s_cselect_b32 s2, s3, s2
	s_wait_alu depctr_sa_sdst(0)
	s_xor_b32 s2, s2, s26
	s_wait_alu depctr_sa_sdst(0)
	s_sub_co_i32 s2, s2, s26
	.loc	1 25 53                         ; matmul.py:25:53
	s_wait_alu depctr_sa_sdst(0)
	v_mad_co_u64_u32 v[34:35], null, s2, s23, v[1:2]
	.loc	1 0 0 is_stmt 0                 ; matmul.py:0
	s_mul_u64 s[2:3], s[8:9], s[10:11]
	.loc	1 25 22                         ; matmul.py:25:22
	v_ashrrev_i32_e32 v35, 31, v34
	s_delay_alu instid0(VALU_DEP_1) | instskip(SKIP_1) | instid1(VALU_DEP_2)
	v_lshlrev_b64_e32 v[157:158], 1, v[34:35]
	v_dual_mov_b32 v34, 0 :: v_dual_mov_b32 v35, 0
	v_add_co_u32 v221, vcc_lo, s4, v157
	s_wait_alu depctr_va_vcc(0)
	s_delay_alu instid0(VALU_DEP_3)
	v_add_co_ci_u32_e64 v222, null, s5, v158, vcc_lo
	.loc	1 30 20 is_stmt 1               ; matmul.py:30:20
	s_and_saveexec_b32 s2, s28
	s_cbranch_execz .LBB0_62
; %bb.61:
	global_load_u16 v35, v[221:222], off
.LBB0_62:
	.loc	1 0 20 is_stmt 0                ; matmul.py:0:20
	s_wait_alu depctr_sa_sdst(0)
	s_or_b32 exec_lo, exec_lo, s2
	.loc	1 22 68 is_stmt 1               ; matmul.py:22:68
	s_mul_i32 s2, s3, s19
	s_wait_alu depctr_sa_sdst(0)
	s_sub_co_i32 s2, s8, s2
	s_load_b64 s[8:9], s[0:1], 0x2c
	s_sub_co_i32 s3, s2, s19
	s_cmp_ge_u32 s2, s19
	s_wait_alu depctr_sa_sdst(0)
	s_cselect_b32 s2, s3, s2
	s_wait_alu depctr_sa_sdst(0)
	s_sub_co_i32 s3, s2, s19
	s_cmp_ge_u32 s2, s19
	s_wait_alu depctr_sa_sdst(0)
	s_cselect_b32 s2, s3, s2
	s_wait_alu depctr_sa_sdst(0)
	s_xor_b32 s2, s2, s26
	s_wait_alu depctr_sa_sdst(0)
	s_sub_co_i32 s2, s2, s26
	.loc	1 25 53                         ; matmul.py:25:53
	s_wait_alu depctr_sa_sdst(0)
	v_mad_co_u64_u32 v[1:2], null, s2, s23, v[1:2]
	s_delay_alu instid0(VALU_DEP_1) | instskip(NEXT) | instid1(VALU_DEP_1)
	.loc	1 25 22 is_stmt 0               ; matmul.py:25:22
	v_ashrrev_i32_e32 v2, 31, v1
	v_lshlrev_b64_e32 v[159:160], 1, v[1:2]
	s_delay_alu instid0(VALU_DEP_1) | instskip(SKIP_1) | instid1(VALU_DEP_2)
	v_add_co_u32 v225, vcc_lo, s4, v159
	s_wait_alu depctr_va_vcc(0)
	v_add_co_ci_u32_e64 v226, null, s5, v160, vcc_lo
	.loc	1 30 20 is_stmt 1               ; matmul.py:30:20
	s_and_saveexec_b32 s2, s28
	s_cbranch_execz .LBB0_64
; %bb.63:
	global_load_u16 v34, v[225:226], off
.LBB0_64:
	.loc	1 0 20 is_stmt 0                ; matmul.py:0:20
	s_wait_alu depctr_sa_sdst(0)
	s_or_b32 exec_lo, exec_lo, s2
	.loc	1 23 68 is_stmt 1               ; matmul.py:23:68
	v_mul_lo_u32 v1, v3, s27
	.loc	1 26 29                         ; matmul.py:26:29
	s_bfe_u32 s13, s18, 0x10001
	v_mov_b32_e32 v3, 0
	.loc	1 26 40 is_stmt 0               ; matmul.py:26:40
	s_wait_kmcnt 0x0
	s_wait_alu depctr_sa_sdst(0)
	s_mul_i32 s2, s8, s13
	.loc	1 31 51 is_stmt 1               ; matmul.py:31:51
	s_cmp_ge_i32 s13, s22
	s_delay_alu instid0(VALU_DEP_2) | instskip(NEXT) | instid1(VALU_DEP_1)
	.loc	1 23 68                         ; matmul.py:23:68
	v_sub_nc_u32_e32 v1, v36, v1
	v_subrev_nc_u32_e32 v2, s27, v1
	v_cmp_le_u32_e32 vcc_lo, s27, v1
	s_wait_alu depctr_va_vcc(0)
	s_delay_alu instid0(VALU_DEP_2) | instskip(NEXT) | instid1(VALU_DEP_1)
	v_cndmask_b32_e32 v1, v1, v2, vcc_lo
	v_subrev_nc_u32_e32 v2, s27, v1
	v_cmp_le_u32_e32 vcc_lo, s27, v1
	s_wait_alu depctr_va_vcc(0)
	s_delay_alu instid0(VALU_DEP_2) | instskip(NEXT) | instid1(VALU_DEP_1)
	v_cndmask_b32_e32 v1, v1, v2, vcc_lo
	v_xor_b32_e32 v1, s30, v1
	s_delay_alu instid0(VALU_DEP_1) | instskip(SKIP_1) | instid1(VALU_DEP_1)
	v_subrev_nc_u32_e32 v1, s30, v1
	.loc	1 26 52                         ; matmul.py:26:52
	s_wait_alu depctr_sa_sdst(0)
	v_mad_co_u64_u32 v[1:2], null, v1, s9, s[2:3]
	.loc	1 31 51                         ; matmul.py:31:51
	s_cselect_b32 s2, -1, 0
	.loc	1 29 22                         ; matmul.py:29:22
	s_xor_b32 s3, s17, -1
	.loc	1 31 20                         ; matmul.py:31:20
	s_wait_alu depctr_sa_sdst(0)
	s_or_b32 s2, s2, s3
	s_wait_alu depctr_sa_sdst(0)
	s_and_b32 vcc_lo, exec_lo, s2
	.loc	1 26 22                         ; matmul.py:26:22
	v_ashrrev_i32_e32 v2, 31, v1
	s_delay_alu instid0(VALU_DEP_1) | instskip(SKIP_1) | instid1(VALU_DEP_2)
	v_lshlrev_b64_e32 v[161:162], 1, v[1:2]
	v_mov_b32_e32 v2, 0
	v_add_co_u32 v223, s2, s6, v161
	s_wait_alu depctr_va_sdst(0)
	s_delay_alu instid0(VALU_DEP_3)
	v_add_co_ci_u32_e64 v224, null, s7, v162, s2
	.loc	1 31 20                         ; matmul.py:31:20
	s_wait_alu depctr_sa_sdst(0)
	s_cbranch_vccnz .LBB0_66
; %bb.65:
	global_load_u16 v3, v[223:224], off
.LBB0_66:
	.loc	1 26 52                         ; matmul.py:26:52
	v_lshl_add_u32 v36, s8, 1, v1
	.loc	1 26 29 is_stmt 0               ; matmul.py:26:29
	s_or_b32 s14, s13, 2
	s_delay_alu instid0(SALU_CYCLE_1) | instskip(SKIP_1) | instid1(VALU_DEP_1)
	.loc	1 31 51 is_stmt 1               ; matmul.py:31:51
	s_cmp_ge_i32 s14, s22
	s_cselect_b32 s2, -1, 0
	.loc	1 26 22                         ; matmul.py:26:22
	v_ashrrev_i32_e32 v37, 31, v36
	.loc	1 31 20                         ; matmul.py:31:20
	s_wait_alu depctr_sa_sdst(0)
	s_or_b32 s2, s2, s3
	s_delay_alu instid0(VALU_DEP_1) | instskip(NEXT) | instid1(VALU_DEP_1)
	.loc	1 26 22                         ; matmul.py:26:22
	v_lshlrev_b64_e32 v[163:164], 1, v[36:37]
	v_add_co_u32 v227, vcc_lo, s6, v163
	s_wait_alu depctr_va_vcc(0)
	s_delay_alu instid0(VALU_DEP_2)
	v_add_co_ci_u32_e64 v228, null, s7, v164, vcc_lo
	.loc	1 31 20                         ; matmul.py:31:20
	s_wait_alu depctr_sa_sdst(0)
	s_and_b32 vcc_lo, exec_lo, s2
	s_wait_alu depctr_sa_sdst(0)
	s_cbranch_vccnz .LBB0_68
; %bb.67:
	global_load_u16 v2, v[227:228], off
.LBB0_68:
	.loc	1 26 52                         ; matmul.py:26:52
	v_lshl_add_u32 v36, s8, 2, v1
	.loc	1 26 29 is_stmt 0               ; matmul.py:26:29
	s_or_b32 s15, s13, 4
	s_delay_alu instid0(SALU_CYCLE_1) | instskip(SKIP_1) | instid1(VALU_DEP_1)
	.loc	1 31 51 is_stmt 1               ; matmul.py:31:51
	s_cmp_ge_i32 s15, s22
	s_cselect_b32 s2, -1, 0
	.loc	1 26 22                         ; matmul.py:26:22
	v_ashrrev_i32_e32 v37, 31, v36
	.loc	1 31 20                         ; matmul.py:31:20
	s_wait_alu depctr_sa_sdst(0)
	s_or_b32 s2, s2, s3
	s_wait_alu depctr_sa_sdst(0)
	s_and_b32 vcc_lo, exec_lo, s2
	.loc	1 26 22                         ; matmul.py:26:22
	v_lshlrev_b64_e32 v[165:166], 1, v[36:37]
	v_dual_mov_b32 v36, 0 :: v_dual_mov_b32 v37, 0
	s_delay_alu instid0(VALU_DEP_2) | instskip(SKIP_1) | instid1(VALU_DEP_3)
	v_add_co_u32 v229, s2, s6, v165
	s_wait_alu depctr_va_sdst(0)
	v_add_co_ci_u32_e64 v230, null, s7, v166, s2
	.loc	1 31 20                         ; matmul.py:31:20
	s_wait_alu depctr_sa_sdst(0)
	s_cbranch_vccnz .LBB0_70
; %bb.69:
	global_load_u16 v37, v[229:230], off
.LBB0_70:
	.loc	1 26 52                         ; matmul.py:26:52
	s_wait_loadcnt 0x0
	v_mad_co_u64_u32 v[38:39], null, s8, 6, v[1:2]
	.loc	1 26 29 is_stmt 0               ; matmul.py:26:29
	s_or_b32 s23, s13, 6
	.loc	1 31 51 is_stmt 1               ; matmul.py:31:51
	s_wait_alu depctr_sa_sdst(0)
	s_cmp_ge_i32 s23, s22
	s_cselect_b32 s2, -1, 0
	.loc	1 31 20 is_stmt 0               ; matmul.py:31:20
	s_wait_alu depctr_sa_sdst(0)
	s_or_b32 s2, s2, s3
	.loc	1 26 22 is_stmt 1               ; matmul.py:26:22
	v_ashrrev_i32_e32 v39, 31, v38
	s_delay_alu instid0(VALU_DEP_1) | instskip(NEXT) | instid1(VALU_DEP_1)
	v_lshlrev_b64_e32 v[167:168], 1, v[38:39]
	v_add_co_u32 v231, vcc_lo, s6, v167
	s_wait_alu depctr_va_vcc(0)
	s_delay_alu instid0(VALU_DEP_2)
	v_add_co_ci_u32_e64 v232, null, s7, v168, vcc_lo
	.loc	1 31 20                         ; matmul.py:31:20
	s_wait_alu depctr_sa_sdst(0)
	s_and_b32 vcc_lo, exec_lo, s2
	s_wait_alu depctr_sa_sdst(0)
	s_cbranch_vccnz .LBB0_72
; %bb.71:
	global_load_u16 v36, v[231:232], off
.LBB0_72:
	.loc	1 26 52                         ; matmul.py:26:52
	v_lshl_add_u32 v38, s8, 3, v1
	.loc	1 26 29 is_stmt 0               ; matmul.py:26:29
	s_or_b32 s26, s13, 8
	.loc	1 31 51 is_stmt 1               ; matmul.py:31:51
	s_wait_alu depctr_sa_sdst(0)
	s_cmp_ge_i32 s26, s22
	s_cselect_b32 s2, -1, 0
	.loc	1 26 22                         ; matmul.py:26:22
	v_ashrrev_i32_e32 v39, 31, v38
	.loc	1 31 20                         ; matmul.py:31:20
	s_wait_alu depctr_sa_sdst(0)
	s_or_b32 s2, s2, s3
	s_wait_alu depctr_sa_sdst(0)
	s_and_b32 vcc_lo, exec_lo, s2
	.loc	1 26 22                         ; matmul.py:26:22
	v_lshlrev_b64_e32 v[169:170], 1, v[38:39]
	v_dual_mov_b32 v38, 0 :: v_dual_mov_b32 v39, 0
	s_delay_alu instid0(VALU_DEP_2) | instskip(SKIP_1) | instid1(VALU_DEP_3)
	v_add_co_u32 v233, s2, s6, v169
	s_wait_alu depctr_va_sdst(0)
	v_add_co_ci_u32_e64 v234, null, s7, v170, s2
	.loc	1 31 20                         ; matmul.py:31:20
	s_wait_alu depctr_sa_sdst(0)
	s_cbranch_vccnz .LBB0_74
; %bb.73:
	global_load_u16 v39, v[233:234], off
.LBB0_74:
	.loc	1 26 52                         ; matmul.py:26:52
	v_mad_co_u64_u32 v[40:41], null, s8, 10, v[1:2]
	.loc	1 26 29 is_stmt 0               ; matmul.py:26:29
	s_or_b32 s27, s13, 10
	.loc	1 31 51 is_stmt 1               ; matmul.py:31:51
	s_wait_alu depctr_sa_sdst(0)
	s_cmp_ge_i32 s27, s22
	s_cselect_b32 s2, -1, 0
	.loc	1 31 20 is_stmt 0               ; matmul.py:31:20
	s_wait_alu depctr_sa_sdst(0)
	s_or_b32 s2, s2, s3
	.loc	1 26 22 is_stmt 1               ; matmul.py:26:22
	v_ashrrev_i32_e32 v41, 31, v40
	s_delay_alu instid0(VALU_DEP_1) | instskip(NEXT) | instid1(VALU_DEP_1)
	v_lshlrev_b64_e32 v[171:172], 1, v[40:41]
	v_add_co_u32 v235, vcc_lo, s6, v171
	s_wait_alu depctr_va_vcc(0)
	s_delay_alu instid0(VALU_DEP_2)
	v_add_co_ci_u32_e64 v236, null, s7, v172, vcc_lo
	.loc	1 31 20                         ; matmul.py:31:20
	s_wait_alu depctr_sa_sdst(0)
	s_and_b32 vcc_lo, exec_lo, s2
	s_wait_alu depctr_sa_sdst(0)
	s_cbranch_vccnz .LBB0_76
; %bb.75:
	global_load_u16 v38, v[235:236], off
.LBB0_76:
	.loc	1 26 52                         ; matmul.py:26:52
	v_mad_co_u64_u32 v[40:41], null, s8, 12, v[1:2]
	.loc	1 26 29 is_stmt 0               ; matmul.py:26:29
	s_or_b32 s28, s13, 12
	v_dual_mov_b32 v42, 0 :: v_dual_mov_b32 v43, 0
	.loc	1 31 51 is_stmt 1               ; matmul.py:31:51
	s_cmp_ge_i32 s28, s22
	s_cselect_b32 s2, -1, 0
	.loc	1 26 22                         ; matmul.py:26:22
	v_ashrrev_i32_e32 v41, 31, v40
	.loc	1 31 20                         ; matmul.py:31:20
	s_wait_alu depctr_sa_sdst(0)
	s_or_b32 s2, s2, s3
	s_wait_alu depctr_sa_sdst(0)
	s_and_b32 vcc_lo, exec_lo, s2
	.loc	1 26 22                         ; matmul.py:26:22
	v_lshlrev_b64_e32 v[173:174], 1, v[40:41]
	s_delay_alu instid0(VALU_DEP_1) | instskip(SKIP_1) | instid1(VALU_DEP_2)
	v_add_co_u32 v237, s2, s6, v173
	s_wait_alu depctr_va_sdst(0)
	v_add_co_ci_u32_e64 v238, null, s7, v174, s2
	.loc	1 31 20                         ; matmul.py:31:20
	s_wait_alu depctr_sa_sdst(0)
	s_cbranch_vccnz .LBB0_78
; %bb.77:
	global_load_u16 v43, v[237:238], off
.LBB0_78:
	.loc	1 26 52                         ; matmul.py:26:52
	v_mad_co_u64_u32 v[40:41], null, s8, 14, v[1:2]
	.loc	1 26 29 is_stmt 0               ; matmul.py:26:29
	s_or_b32 s29, s13, 14
	s_delay_alu instid0(SALU_CYCLE_1) | instskip(SKIP_4) | instid1(VALU_DEP_1)
	.loc	1 31 51 is_stmt 1               ; matmul.py:31:51
	s_cmp_ge_i32 s29, s22
	s_cselect_b32 s2, -1, 0
	.loc	1 31 20 is_stmt 0               ; matmul.py:31:20
	s_wait_alu depctr_sa_sdst(0)
	s_or_b32 s2, s2, s3
	.loc	1 26 22 is_stmt 1               ; matmul.py:26:22
	v_ashrrev_i32_e32 v41, 31, v40
	v_lshlrev_b64_e32 v[175:176], 1, v[40:41]
	s_delay_alu instid0(VALU_DEP_1) | instskip(SKIP_1) | instid1(VALU_DEP_2)
	v_add_co_u32 v239, vcc_lo, s6, v175
	s_wait_alu depctr_va_vcc(0)
	v_add_co_ci_u32_e64 v240, null, s7, v176, vcc_lo
	.loc	1 31 20                         ; matmul.py:31:20
	s_wait_alu depctr_sa_sdst(0)
	s_and_b32 vcc_lo, exec_lo, s2
	s_wait_alu depctr_sa_sdst(0)
	s_cbranch_vccnz .LBB0_80
; %bb.79:
	global_load_u16 v42, v[239:240], off
.LBB0_80:
	.loc	1 26 52                         ; matmul.py:26:52
	v_lshl_add_u32 v40, s8, 4, v1
	.loc	1 26 29 is_stmt 0               ; matmul.py:26:29
	s_or_b32 s30, s13, 16
	.loc	1 31 51 is_stmt 1               ; matmul.py:31:51
	s_wait_alu depctr_sa_sdst(0)
	s_cmp_ge_i32 s30, s22
	s_cselect_b32 s2, -1, 0
	.loc	1 26 22                         ; matmul.py:26:22
	v_ashrrev_i32_e32 v41, 31, v40
	.loc	1 31 20                         ; matmul.py:31:20
	s_wait_alu depctr_sa_sdst(0)
	s_or_b32 s2, s2, s3
	s_wait_alu depctr_sa_sdst(0)
	s_and_b32 vcc_lo, exec_lo, s2
	.loc	1 26 22                         ; matmul.py:26:22
	v_lshlrev_b64_e32 v[177:178], 1, v[40:41]
	v_dual_mov_b32 v40, 0 :: v_dual_mov_b32 v41, 0
	s_delay_alu instid0(VALU_DEP_2) | instskip(SKIP_1) | instid1(VALU_DEP_3)
	v_add_co_u32 v241, s2, s6, v177
	s_wait_alu depctr_va_sdst(0)
	v_add_co_ci_u32_e64 v242, null, s7, v178, s2
	.loc	1 31 20                         ; matmul.py:31:20
	s_wait_alu depctr_sa_sdst(0)
	s_cbranch_vccnz .LBB0_82
; %bb.81:
	global_load_u16 v41, v[241:242], off
.LBB0_82:
	.loc	1 26 52                         ; matmul.py:26:52
	v_mad_co_u64_u32 v[44:45], null, s8, 18, v[1:2]
	.loc	1 26 29 is_stmt 0               ; matmul.py:26:29
	s_or_b32 s31, s13, 18
	.loc	1 31 51 is_stmt 1               ; matmul.py:31:51
	s_wait_alu depctr_sa_sdst(0)
	s_cmp_ge_i32 s31, s22
	s_cselect_b32 s2, -1, 0
	.loc	1 31 20 is_stmt 0               ; matmul.py:31:20
	s_wait_alu depctr_sa_sdst(0)
	s_or_b32 s2, s2, s3
	.loc	1 26 22 is_stmt 1               ; matmul.py:26:22
	v_ashrrev_i32_e32 v45, 31, v44
	s_delay_alu instid0(VALU_DEP_1) | instskip(NEXT) | instid1(VALU_DEP_1)
	v_lshlrev_b64_e32 v[179:180], 1, v[44:45]
	v_add_co_u32 v243, vcc_lo, s6, v179
	s_wait_alu depctr_va_vcc(0)
	s_delay_alu instid0(VALU_DEP_2)
	v_add_co_ci_u32_e64 v244, null, s7, v180, vcc_lo
	.loc	1 31 20                         ; matmul.py:31:20
	s_wait_alu depctr_sa_sdst(0)
	s_and_b32 vcc_lo, exec_lo, s2
	s_wait_alu depctr_sa_sdst(0)
	s_cbranch_vccnz .LBB0_84
; %bb.83:
	global_load_u16 v40, v[243:244], off
.LBB0_84:
	.loc	1 26 52                         ; matmul.py:26:52
	v_mad_co_u64_u32 v[44:45], null, s8, 20, v[1:2]
	.loc	1 26 29 is_stmt 0               ; matmul.py:26:29
	s_or_b32 s33, s13, 20
	s_delay_alu instid0(SALU_CYCLE_1)
	.loc	1 31 51 is_stmt 1               ; matmul.py:31:51
	s_cmp_ge_i32 s33, s22
	s_cselect_b32 s2, -1, 0
	.loc	1 31 20 is_stmt 0               ; matmul.py:31:20
	s_wait_alu depctr_sa_sdst(0)
	s_or_b32 s2, s2, s3
	.loc	1 26 22 is_stmt 1               ; matmul.py:26:22
	v_ashrrev_i32_e32 v45, 31, v44
	.loc	1 31 20                         ; matmul.py:31:20
	s_wait_alu depctr_sa_sdst(0)
	s_and_b32 vcc_lo, exec_lo, s2
	s_delay_alu instid0(VALU_DEP_1) | instskip(SKIP_1) | instid1(VALU_DEP_2)
	.loc	1 26 22                         ; matmul.py:26:22
	v_lshlrev_b64_e32 v[181:182], 1, v[44:45]
	v_dual_mov_b32 v44, 0 :: v_dual_mov_b32 v45, 0
	v_add_co_u32 v245, s2, s6, v181
	s_wait_alu depctr_va_sdst(0)
	s_delay_alu instid0(VALU_DEP_3)
	v_add_co_ci_u32_e64 v246, null, s7, v182, s2
	.loc	1 31 20                         ; matmul.py:31:20
	s_wait_alu depctr_sa_sdst(0)
	s_cbranch_vccnz .LBB0_86
; %bb.85:
	global_load_u16 v45, v[245:246], off
.LBB0_86:
	.loc	1 26 52                         ; matmul.py:26:52
	v_mad_co_u64_u32 v[46:47], null, s8, 22, v[1:2]
	.loc	1 26 29 is_stmt 0               ; matmul.py:26:29
	s_or_b32 s35, s13, 22
	s_delay_alu instid0(SALU_CYCLE_1) | instskip(SKIP_4) | instid1(VALU_DEP_1)
	.loc	1 31 51 is_stmt 1               ; matmul.py:31:51
	s_cmp_ge_i32 s35, s22
	s_cselect_b32 s2, -1, 0
	.loc	1 31 20 is_stmt 0               ; matmul.py:31:20
	s_wait_alu depctr_sa_sdst(0)
	s_or_b32 s2, s2, s3
	.loc	1 26 22 is_stmt 1               ; matmul.py:26:22
	v_ashrrev_i32_e32 v47, 31, v46
	v_lshlrev_b64_e32 v[183:184], 1, v[46:47]
	s_delay_alu instid0(VALU_DEP_1) | instskip(SKIP_1) | instid1(VALU_DEP_2)
	v_add_co_u32 v247, vcc_lo, s6, v183
	s_wait_alu depctr_va_vcc(0)
	v_add_co_ci_u32_e64 v248, null, s7, v184, vcc_lo
	.loc	1 31 20                         ; matmul.py:31:20
	s_wait_alu depctr_sa_sdst(0)
	s_and_b32 vcc_lo, exec_lo, s2
	s_wait_alu depctr_sa_sdst(0)
	s_cbranch_vccnz .LBB0_88
; %bb.87:
	global_load_u16 v44, v[247:248], off
.LBB0_88:
	.loc	1 26 52                         ; matmul.py:26:52
	v_mad_co_u64_u32 v[46:47], null, s8, 24, v[1:2]
	.loc	1 26 29 is_stmt 0               ; matmul.py:26:29
	s_or_b32 s36, s13, 24
	s_delay_alu instid0(SALU_CYCLE_1)
	.loc	1 31 51 is_stmt 1               ; matmul.py:31:51
	s_cmp_ge_i32 s36, s22
	s_cselect_b32 s2, -1, 0
	.loc	1 31 20 is_stmt 0               ; matmul.py:31:20
	s_wait_alu depctr_sa_sdst(0)
	s_or_b32 s2, s2, s3
	.loc	1 26 22 is_stmt 1               ; matmul.py:26:22
	v_ashrrev_i32_e32 v47, 31, v46
	.loc	1 31 20                         ; matmul.py:31:20
	s_wait_alu depctr_sa_sdst(0)
	s_and_b32 vcc_lo, exec_lo, s2
	s_delay_alu instid0(VALU_DEP_1) | instskip(SKIP_1) | instid1(VALU_DEP_2)
	.loc	1 26 22                         ; matmul.py:26:22
	v_lshlrev_b64_e32 v[185:186], 1, v[46:47]
	v_dual_mov_b32 v46, 0 :: v_dual_mov_b32 v47, 0
	v_add_co_u32 v249, s2, s6, v185
	s_wait_alu depctr_va_sdst(0)
	s_delay_alu instid0(VALU_DEP_3)
	v_add_co_ci_u32_e64 v250, null, s7, v186, s2
	.loc	1 31 20                         ; matmul.py:31:20
	s_wait_alu depctr_sa_sdst(0)
	s_cbranch_vccnz .LBB0_90
; %bb.89:
	global_load_u16 v47, v[249:250], off
.LBB0_90:
	.loc	1 26 52                         ; matmul.py:26:52
	v_mad_co_u64_u32 v[48:49], null, s8, 26, v[1:2]
	.loc	1 26 29 is_stmt 0               ; matmul.py:26:29
	s_or_b32 s37, s13, 26
	s_delay_alu instid0(SALU_CYCLE_1) | instskip(SKIP_4) | instid1(VALU_DEP_1)
	.loc	1 31 51 is_stmt 1               ; matmul.py:31:51
	s_cmp_ge_i32 s37, s22
	s_cselect_b32 s2, -1, 0
	.loc	1 31 20 is_stmt 0               ; matmul.py:31:20
	s_wait_alu depctr_sa_sdst(0)
	s_or_b32 s2, s2, s3
	.loc	1 26 22 is_stmt 1               ; matmul.py:26:22
	v_ashrrev_i32_e32 v49, 31, v48
	v_lshlrev_b64_e32 v[187:188], 1, v[48:49]
	s_delay_alu instid0(VALU_DEP_1) | instskip(SKIP_1) | instid1(VALU_DEP_2)
	v_add_co_u32 v251, vcc_lo, s6, v187
	s_wait_alu depctr_va_vcc(0)
	v_add_co_ci_u32_e64 v252, null, s7, v188, vcc_lo
	.loc	1 31 20                         ; matmul.py:31:20
	s_wait_alu depctr_sa_sdst(0)
	s_and_b32 vcc_lo, exec_lo, s2
	s_wait_alu depctr_sa_sdst(0)
	s_cbranch_vccnz .LBB0_92
; %bb.91:
	global_load_u16 v46, v[251:252], off
.LBB0_92:
	.loc	1 26 52                         ; matmul.py:26:52
	v_mad_co_u64_u32 v[48:49], null, s8, 28, v[1:2]
	.loc	1 26 29 is_stmt 0               ; matmul.py:26:29
	s_or_b32 s38, s13, 28
	s_delay_alu instid0(SALU_CYCLE_1)
	.loc	1 31 51 is_stmt 1               ; matmul.py:31:51
	s_cmp_ge_i32 s38, s22
	s_cselect_b32 s2, -1, 0
	.loc	1 31 20 is_stmt 0               ; matmul.py:31:20
	s_wait_alu depctr_sa_sdst(0)
	s_or_b32 s2, s2, s3
	.loc	1 26 22 is_stmt 1               ; matmul.py:26:22
	v_ashrrev_i32_e32 v49, 31, v48
	.loc	1 31 20                         ; matmul.py:31:20
	s_wait_alu depctr_sa_sdst(0)
	s_and_b32 vcc_lo, exec_lo, s2
	s_delay_alu instid0(VALU_DEP_1) | instskip(SKIP_1) | instid1(VALU_DEP_2)
	.loc	1 26 22                         ; matmul.py:26:22
	v_lshlrev_b64_e32 v[189:190], 1, v[48:49]
	v_dual_mov_b32 v48, 0 :: v_dual_mov_b32 v49, 0
	v_add_co_u32 v253, s2, s6, v189
	s_wait_alu depctr_va_sdst(0)
	s_delay_alu instid0(VALU_DEP_3)
	v_add_co_ci_u32_e64 v254, null, s7, v190, s2
	.loc	1 31 20                         ; matmul.py:31:20
	s_wait_alu depctr_sa_sdst(0)
	s_cbranch_vccnz .LBB0_94
; %bb.93:
	global_load_u16 v49, v[253:254], off
.LBB0_94:
	.loc	1 26 52                         ; matmul.py:26:52
	v_mad_co_u64_u32 v[50:51], null, s8, 30, v[1:2]
	.loc	1 26 29 is_stmt 0               ; matmul.py:26:29
	s_or_b32 s39, s13, 30
	s_and_b32 s12, s18, 2
	.loc	1 31 51 is_stmt 1               ; matmul.py:31:51
	s_cmp_ge_i32 s39, s22
	s_cselect_b32 s2, -1, 0
	.loc	1 31 20 is_stmt 0               ; matmul.py:31:20
	s_wait_alu depctr_sa_sdst(0)
	s_or_b32 s2, s2, s3
	.loc	1 26 22 is_stmt 1               ; matmul.py:26:22
	v_ashrrev_i32_e32 v51, 31, v50
	s_delay_alu instid0(VALU_DEP_1) | instskip(NEXT) | instid1(VALU_DEP_1)
	v_lshlrev_b64_e32 v[191:192], 1, v[50:51]
	v_add_co_u32 v85, vcc_lo, s6, v191
	s_wait_alu depctr_va_vcc(0)
	s_delay_alu instid0(VALU_DEP_2)
	v_add_co_ci_u32_e64 v86, null, s7, v192, vcc_lo
	.loc	1 31 20                         ; matmul.py:31:20
	s_wait_alu depctr_sa_sdst(0)
	s_and_b32 vcc_lo, exec_lo, s2
	s_wait_alu depctr_sa_sdst(0)
	s_cbranch_vccnz .LBB0_96
; %bb.95:
	global_load_u16 v48, v[85:86], off
.LBB0_96:
	.loc	1 30 20                         ; matmul.py:30:20
	v_lshlrev_b32_e32 v1, 1, v52
	.loc	1 22 51                         ; matmul.py:22:51
	s_cmp_eq_u32 s12, 0
	s_load_b64 s[18:19], s[0:1], 0x10
	.loc	1 30 20                         ; matmul.py:30:20
	s_cselect_b32 s2, 0, 0x90
	scratch_store_b32 off, v53, off offset:32 ; 4-byte Folded Spill
	s_wait_alu depctr_sa_sdst(0)
	v_xor_b32_e32 v1, s2, v1
	v_dual_mov_b32 v55, 0 :: v_dual_mov_b32 v60, 0
	v_dual_mov_b32 v51, 0 :: v_dual_and_b32 v98, 15, v0
	s_delay_alu instid0(VALU_DEP_3)
	v_add_nc_u32_e32 v103, 0, v1
	v_xor_b32_e32 v1, 32, v1
	v_mov_b32_e32 v63, 0
	v_mov_b32_e32 v61, 0
	;; [unrolled: 1-line block ×3, first 2 shown]
	ds_store_b16 v103, v5
	ds_store_b16 v103, v7 offset:512
	ds_store_b16 v103, v9 offset:1024
	;; [unrolled: 1-line block ×7, first 2 shown]
	.loc	1 31 20                         ; matmul.py:31:20
	v_lshlrev_b32_e32 v5, 1, v53
	.loc	1 30 20                         ; matmul.py:30:20
	v_add_nc_u32_e32 v255, 0, v1
	ds_store_b16 v103, v23 offset:4608
	ds_store_b16 v103, v25 offset:5120
	;; [unrolled: 1-line block ×7, first 2 shown]
	v_mov_b32_e32 v7, 0
	ds_store_b16 v255, v4 offset:256
	ds_store_b16 v255, v6 offset:768
	;; [unrolled: 1-line block ×8, first 2 shown]
	v_dual_mov_b32 v4, 0 :: v_dual_and_b32 v1, 0xfe, v5
	v_mov_b32_e32 v16, 0
	v_mov_b32_e32 v8, 0
	;; [unrolled: 1-line block ×3, first 2 shown]
	ds_store_b16 v103, v21 offset:4096
	v_dual_mov_b32 v14, 0 :: v_dual_add_nc_u32 v97, 0, v1
	ds_store_b16 v255, v20 offset:4352
	ds_store_b16 v255, v22 offset:4864
	;; [unrolled: 1-line block ×8, first 2 shown]
	.loc	1 31 20                         ; matmul.py:31:20
	ds_store_b16 v97, v3 offset:8192
	ds_store_b16 v97, v2 offset:8448
	;; [unrolled: 1-line block ×3, first 2 shown]
	s_wait_loadcnt 0x0
	ds_store_b16 v97, v36 offset:8960
	ds_store_b16 v97, v39 offset:9216
	;; [unrolled: 1-line block ×5, first 2 shown]
	v_dual_mov_b32 v5, 0 :: v_dual_mov_b32 v10, 0
	v_dual_mov_b32 v3, 0 :: v_dual_mov_b32 v24, 0
	;; [unrolled: 1-line block ×5, first 2 shown]
	v_mov_b32_e32 v18, 0
	v_dual_mov_b32 v12, 0 :: v_dual_mov_b32 v11, 0
	v_dual_mov_b32 v32, 0 :: v_dual_mov_b32 v9, 0
	;; [unrolled: 1-line block ×6, first 2 shown]
	ds_store_b16 v97, v41 offset:10240
	ds_store_b16 v97, v40 offset:10496
	;; [unrolled: 1-line block ×8, first 2 shown]
	v_dual_mov_b32 v31, 0 :: v_dual_mov_b32 v36, 0
	v_dual_mov_b32 v29, 0 :: v_dual_mov_b32 v34, 0
	;; [unrolled: 1-line block ×14, first 2 shown]
	v_mov_b32_e32 v57, 0
	.loc	1 29 22                         ; matmul.py:29:22
	s_cmp_lt_i32 s34, 64
	s_cbranch_scc1 .LBB0_279
; %bb.97:                               ; %.lr.ph
	.loc	1 30 55                         ; matmul.py:30:55
	s_sub_co_i32 s9, s22, 32
	v_mov_b32_e32 v102, 0
	.loc	1 30 51 is_stmt 0               ; matmul.py:30:51
	s_wait_alu depctr_sa_sdst(0)
	v_cmp_gt_u32_e32 vcc_lo, s9, v104
	v_mov_b32_e32 v4, 0
	.loc	1 33 33 is_stmt 1               ; matmul.py:33:33
	s_lshl_b32 s10, s40, 5
	s_delay_alu instid0(SALU_CYCLE_1)
	s_ashr_i32 s11, s10, 31
	.loc	1 30 20                         ; matmul.py:30:20
	s_and_saveexec_b32 s3, vcc_lo
	s_cbranch_execz .LBB0_99
; %bb.98:
	.loc	1 33 18                         ; matmul.py:33:18
	s_lshl_b64 s[40:41], s[10:11], 1
	s_wait_alu depctr_sa_sdst(0)
	v_add_co_u32 v1, s2, v99, s40
	s_wait_alu depctr_va_sdst(0)
	v_add_co_ci_u32_e64 v2, null, s41, v100, s2
	.loc	1 30 20                         ; matmul.py:30:20
	global_load_u16 v4, v[1:2], off
.LBB0_99:
	.loc	1 0 20 is_stmt 0                ; matmul.py:0:20
	s_wait_alu depctr_sa_sdst(0)
	s_or_b32 exec_lo, exec_lo, s3
	.loc	1 30 20                         ; matmul.py:30:20
	s_and_saveexec_b32 s3, vcc_lo
	s_cbranch_execz .LBB0_101
; %bb.100:
	.loc	1 33 18 is_stmt 1               ; matmul.py:33:18
	s_lshl_b64 s[40:41], s[10:11], 1
	s_wait_alu depctr_sa_sdst(0)
	v_add_co_u32 v1, s2, v67, s40
	s_wait_alu depctr_va_sdst(0)
	v_add_co_ci_u32_e64 v2, null, s41, v68, s2
	.loc	1 30 20                         ; matmul.py:30:20
	global_load_u16 v102, v[1:2], off
.LBB0_101:
	.loc	1 0 20 is_stmt 0                ; matmul.py:0:20
	s_wait_alu depctr_sa_sdst(0)
	s_or_b32 exec_lo, exec_lo, s3
	v_dual_mov_b32 v100, 0 :: v_dual_mov_b32 v5, 0
	.loc	1 30 20                         ; matmul.py:30:20
	s_and_saveexec_b32 s3, vcc_lo
	s_cbranch_execz .LBB0_103
; %bb.102:
	.loc	1 33 18 is_stmt 1               ; matmul.py:33:18
	s_lshl_b64 s[40:41], s[10:11], 1
	s_wait_alu depctr_sa_sdst(0)
	v_add_co_u32 v1, s2, v69, s40
	s_wait_alu depctr_va_sdst(0)
	v_add_co_ci_u32_e64 v2, null, s41, v70, s2
	.loc	1 30 20                         ; matmul.py:30:20
	global_load_u16 v5, v[1:2], off
.LBB0_103:
	.loc	1 0 20 is_stmt 0                ; matmul.py:0:20
	s_wait_alu depctr_sa_sdst(0)
	s_or_b32 exec_lo, exec_lo, s3
	.loc	1 30 20                         ; matmul.py:30:20
	s_and_saveexec_b32 s3, vcc_lo
	s_cbranch_execz .LBB0_105
; %bb.104:
	.loc	1 33 18 is_stmt 1               ; matmul.py:33:18
	s_lshl_b64 s[40:41], s[10:11], 1
	s_wait_alu depctr_sa_sdst(0)
	v_add_co_u32 v1, s2, v71, s40
	s_wait_alu depctr_va_sdst(0)
	v_add_co_ci_u32_e64 v2, null, s41, v72, s2
	.loc	1 30 20                         ; matmul.py:30:20
	global_load_u16 v100, v[1:2], off
.LBB0_105:
	.loc	1 0 20 is_stmt 0                ; matmul.py:0:20
	s_wait_alu depctr_sa_sdst(0)
	s_or_b32 exec_lo, exec_lo, s3
	v_dual_mov_b32 v101, 0 :: v_dual_mov_b32 v6, 0
	.loc	1 30 20                         ; matmul.py:30:20
	s_and_saveexec_b32 s3, vcc_lo
	s_cbranch_execz .LBB0_107
; %bb.106:
	.loc	1 33 18 is_stmt 1               ; matmul.py:33:18
	s_lshl_b64 s[40:41], s[10:11], 1
	s_wait_alu depctr_sa_sdst(0)
	v_add_co_u32 v1, s2, v73, s40
	s_wait_alu depctr_va_sdst(0)
	v_add_co_ci_u32_e64 v2, null, s41, v74, s2
	.loc	1 30 20                         ; matmul.py:30:20
	global_load_u16 v6, v[1:2], off
.LBB0_107:
	.loc	1 0 20 is_stmt 0                ; matmul.py:0:20
	s_wait_alu depctr_sa_sdst(0)
	s_or_b32 exec_lo, exec_lo, s3
	.loc	1 30 20                         ; matmul.py:30:20
	s_and_saveexec_b32 s3, vcc_lo
	s_cbranch_execz .LBB0_109
; %bb.108:
	.loc	1 33 18 is_stmt 1               ; matmul.py:33:18
	s_lshl_b64 s[40:41], s[10:11], 1
	s_wait_alu depctr_sa_sdst(0)
	v_add_co_u32 v1, s2, v75, s40
	s_wait_alu depctr_va_sdst(0)
	v_add_co_ci_u32_e64 v2, null, s41, v76, s2
	.loc	1 30 20                         ; matmul.py:30:20
	global_load_u16 v101, v[1:2], off
.LBB0_109:
	.loc	1 0 20 is_stmt 0                ; matmul.py:0:20
	s_wait_alu depctr_sa_sdst(0)
	s_or_b32 exec_lo, exec_lo, s3
	v_dual_mov_b32 v7, 0 :: v_dual_mov_b32 v8, 0
	.loc	1 30 20                         ; matmul.py:30:20
	s_and_saveexec_b32 s3, vcc_lo
	s_cbranch_execz .LBB0_111
; %bb.110:
	.loc	1 33 18 is_stmt 1               ; matmul.py:33:18
	s_lshl_b64 s[40:41], s[10:11], 1
	s_wait_alu depctr_sa_sdst(0)
	v_add_co_u32 v1, s2, v77, s40
	s_wait_alu depctr_va_sdst(0)
	v_add_co_ci_u32_e64 v2, null, s41, v78, s2
	.loc	1 30 20                         ; matmul.py:30:20
	global_load_u16 v8, v[1:2], off
.LBB0_111:
	.loc	1 0 20 is_stmt 0                ; matmul.py:0:20
	s_wait_alu depctr_sa_sdst(0)
	s_or_b32 exec_lo, exec_lo, s3
	.loc	1 30 20                         ; matmul.py:30:20
	s_and_saveexec_b32 s3, vcc_lo
	s_cbranch_execz .LBB0_113
; %bb.112:
	.loc	1 33 18 is_stmt 1               ; matmul.py:33:18
	s_lshl_b64 s[40:41], s[10:11], 1
	s_wait_alu depctr_sa_sdst(0)
	v_add_co_u32 v1, s2, v79, s40
	s_wait_alu depctr_va_sdst(0)
	v_add_co_ci_u32_e64 v2, null, s41, v80, s2
	.loc	1 30 20                         ; matmul.py:30:20
	global_load_u16 v7, v[1:2], off
.LBB0_113:
	.loc	1 0 20 is_stmt 0                ; matmul.py:0:20
	s_wait_alu depctr_sa_sdst(0)
	s_or_b32 exec_lo, exec_lo, s3
	v_dual_mov_b32 v9, 0 :: v_dual_mov_b32 v10, 0
	.loc	1 30 20                         ; matmul.py:30:20
	s_and_saveexec_b32 s3, vcc_lo
	s_cbranch_execz .LBB0_115
; %bb.114:
	.loc	1 33 18 is_stmt 1               ; matmul.py:33:18
	s_lshl_b64 s[40:41], s[10:11], 1
	s_wait_alu depctr_sa_sdst(0)
	v_add_co_u32 v1, s2, v81, s40
	s_wait_alu depctr_va_sdst(0)
	v_add_co_ci_u32_e64 v2, null, s41, v82, s2
	.loc	1 30 20                         ; matmul.py:30:20
	global_load_u16 v10, v[1:2], off
.LBB0_115:
	.loc	1 0 20 is_stmt 0                ; matmul.py:0:20
	s_wait_alu depctr_sa_sdst(0)
	s_or_b32 exec_lo, exec_lo, s3
	.loc	1 30 20                         ; matmul.py:30:20
	s_and_saveexec_b32 s3, vcc_lo
	s_cbranch_execz .LBB0_117
; %bb.116:
	.loc	1 33 18 is_stmt 1               ; matmul.py:33:18
	s_lshl_b64 s[40:41], s[10:11], 1
	s_wait_alu depctr_sa_sdst(0)
	v_add_co_u32 v1, s2, v83, s40
	s_wait_alu depctr_va_sdst(0)
	v_add_co_ci_u32_e64 v2, null, s41, v84, s2
	.loc	1 30 20                         ; matmul.py:30:20
	global_load_u16 v9, v[1:2], off
.LBB0_117:
	.loc	1 0 20 is_stmt 0                ; matmul.py:0:20
	s_wait_alu depctr_sa_sdst(0)
	s_or_b32 exec_lo, exec_lo, s3
	v_dual_mov_b32 v11, 0 :: v_dual_mov_b32 v12, 0
	.loc	1 30 20                         ; matmul.py:30:20
	s_and_saveexec_b32 s3, vcc_lo
	s_cbranch_execz .LBB0_119
; %bb.118:
	.loc	1 33 18 is_stmt 1               ; matmul.py:33:18
	s_lshl_b64 s[40:41], s[10:11], 1
	s_wait_alu depctr_sa_sdst(0)
	v_add_co_u32 v1, s2, v65, s40
	s_wait_alu depctr_va_sdst(0)
	v_add_co_ci_u32_e64 v2, null, s41, v66, s2
	.loc	1 30 20                         ; matmul.py:30:20
	global_load_u16 v12, v[1:2], off
.LBB0_119:
	.loc	1 0 20 is_stmt 0                ; matmul.py:0:20
	s_wait_alu depctr_sa_sdst(0)
	s_or_b32 exec_lo, exec_lo, s3
	.loc	1 30 20                         ; matmul.py:30:20
	s_and_saveexec_b32 s3, vcc_lo
	s_cbranch_execz .LBB0_121
; %bb.120:
	.loc	1 33 18 is_stmt 1               ; matmul.py:33:18
	s_lshl_b64 s[40:41], s[10:11], 1
	s_wait_alu depctr_sa_sdst(0)
	v_add_co_u32 v1, s2, v87, s40
	s_wait_alu depctr_va_sdst(0)
	v_add_co_ci_u32_e64 v2, null, s41, v88, s2
	.loc	1 30 20                         ; matmul.py:30:20
	global_load_u16 v11, v[1:2], off
.LBB0_121:
	.loc	1 0 20 is_stmt 0                ; matmul.py:0:20
	s_wait_alu depctr_sa_sdst(0)
	s_or_b32 exec_lo, exec_lo, s3
	v_dual_mov_b32 v13, 0 :: v_dual_mov_b32 v14, 0
	.loc	1 30 20                         ; matmul.py:30:20
	s_and_saveexec_b32 s3, vcc_lo
	s_cbranch_execz .LBB0_123
; %bb.122:
	.loc	1 33 18 is_stmt 1               ; matmul.py:33:18
	s_lshl_b64 s[40:41], s[10:11], 1
	s_wait_alu depctr_sa_sdst(0)
	v_add_co_u32 v1, s2, v89, s40
	s_wait_alu depctr_va_sdst(0)
	v_add_co_ci_u32_e64 v2, null, s41, v90, s2
	.loc	1 30 20                         ; matmul.py:30:20
	global_load_u16 v14, v[1:2], off
.LBB0_123:
	.loc	1 0 20 is_stmt 0                ; matmul.py:0:20
	s_wait_alu depctr_sa_sdst(0)
	s_or_b32 exec_lo, exec_lo, s3
	.loc	1 30 20                         ; matmul.py:30:20
	s_and_saveexec_b32 s3, vcc_lo
	s_cbranch_execz .LBB0_125
; %bb.124:
	.loc	1 33 18 is_stmt 1               ; matmul.py:33:18
	s_lshl_b64 s[40:41], s[10:11], 1
	s_wait_alu depctr_sa_sdst(0)
	v_add_co_u32 v1, s2, v91, s40
	s_wait_alu depctr_va_sdst(0)
	v_add_co_ci_u32_e64 v2, null, s41, v92, s2
	.loc	1 30 20                         ; matmul.py:30:20
	global_load_u16 v13, v[1:2], off
.LBB0_125:
	.loc	1 0 20 is_stmt 0                ; matmul.py:0:20
	s_wait_alu depctr_sa_sdst(0)
	s_or_b32 exec_lo, exec_lo, s3
	v_dual_mov_b32 v15, 0 :: v_dual_mov_b32 v16, 0
	.loc	1 30 20                         ; matmul.py:30:20
	s_and_saveexec_b32 s3, vcc_lo
	s_cbranch_execz .LBB0_127
; %bb.126:
	.loc	1 33 18 is_stmt 1               ; matmul.py:33:18
	s_lshl_b64 s[40:41], s[10:11], 1
	s_wait_alu depctr_sa_sdst(0)
	v_add_co_u32 v1, s2, v93, s40
	s_wait_alu depctr_va_sdst(0)
	v_add_co_ci_u32_e64 v2, null, s41, v94, s2
	.loc	1 30 20                         ; matmul.py:30:20
	global_load_u16 v16, v[1:2], off
.LBB0_127:
	.loc	1 0 20 is_stmt 0                ; matmul.py:0:20
	s_wait_alu depctr_sa_sdst(0)
	s_or_b32 exec_lo, exec_lo, s3
	.loc	1 30 20                         ; matmul.py:30:20
	s_and_saveexec_b32 s3, vcc_lo
	s_cbranch_execz .LBB0_129
; %bb.128:
	.loc	1 33 18 is_stmt 1               ; matmul.py:33:18
	s_lshl_b64 s[40:41], s[10:11], 1
	s_wait_alu depctr_sa_sdst(0)
	v_add_co_u32 v1, s2, v95, s40
	s_wait_alu depctr_va_sdst(0)
	v_add_co_ci_u32_e64 v2, null, s41, v96, s2
	.loc	1 30 20                         ; matmul.py:30:20
	global_load_u16 v15, v[1:2], off
.LBB0_129:
	.loc	1 0 20 is_stmt 0                ; matmul.py:0:20
	s_wait_alu depctr_sa_sdst(0)
	s_or_b32 exec_lo, exec_lo, s3
	v_dual_mov_b32 v21, 0 :: v_dual_mov_b32 v22, 0
	.loc	1 30 20                         ; matmul.py:30:20
	s_and_saveexec_b32 s3, vcc_lo
	s_cbranch_execz .LBB0_131
; %bb.130:
	.loc	1 33 18 is_stmt 1               ; matmul.py:33:18
	s_lshl_b64 s[40:41], s[10:11], 1
	s_wait_alu depctr_sa_sdst(0)
	v_add_co_u32 v1, s2, v193, s40
	s_wait_alu depctr_va_sdst(0)
	v_add_co_ci_u32_e64 v2, null, s41, v194, s2
	.loc	1 30 20                         ; matmul.py:30:20
	global_load_u16 v22, v[1:2], off
.LBB0_131:
	.loc	1 0 20 is_stmt 0                ; matmul.py:0:20
	s_wait_alu depctr_sa_sdst(0)
	s_or_b32 exec_lo, exec_lo, s3
	.loc	1 30 20                         ; matmul.py:30:20
	s_and_saveexec_b32 s3, vcc_lo
	s_cbranch_execz .LBB0_133
; %bb.132:
	.loc	1 33 18 is_stmt 1               ; matmul.py:33:18
	s_lshl_b64 s[40:41], s[10:11], 1
	s_wait_alu depctr_sa_sdst(0)
	v_add_co_u32 v1, s2, v195, s40
	s_wait_alu depctr_va_sdst(0)
	v_add_co_ci_u32_e64 v2, null, s41, v196, s2
	.loc	1 30 20                         ; matmul.py:30:20
	global_load_u16 v21, v[1:2], off
.LBB0_133:
	.loc	1 0 20 is_stmt 0                ; matmul.py:0:20
	s_wait_alu depctr_sa_sdst(0)
	s_or_b32 exec_lo, exec_lo, s3
	v_dual_mov_b32 v23, 0 :: v_dual_mov_b32 v94, 0
	.loc	1 30 20                         ; matmul.py:30:20
	s_and_saveexec_b32 s3, vcc_lo
	s_cbranch_execz .LBB0_135
; %bb.134:
	.loc	1 33 18 is_stmt 1               ; matmul.py:33:18
	s_lshl_b64 s[40:41], s[10:11], 1
	s_wait_alu depctr_sa_sdst(0)
	v_add_co_u32 v1, s2, v197, s40
	s_wait_alu depctr_va_sdst(0)
	v_add_co_ci_u32_e64 v2, null, s41, v198, s2
	.loc	1 30 20                         ; matmul.py:30:20
	global_load_u16 v94, v[1:2], off
.LBB0_135:
	.loc	1 0 20 is_stmt 0                ; matmul.py:0:20
	s_wait_alu depctr_sa_sdst(0)
	s_or_b32 exec_lo, exec_lo, s3
	.loc	1 30 20                         ; matmul.py:30:20
	s_and_saveexec_b32 s3, vcc_lo
	s_cbranch_execz .LBB0_137
; %bb.136:
	.loc	1 33 18 is_stmt 1               ; matmul.py:33:18
	s_lshl_b64 s[40:41], s[10:11], 1
	s_wait_alu depctr_sa_sdst(0)
	v_add_co_u32 v1, s2, v199, s40
	s_wait_alu depctr_va_sdst(0)
	v_add_co_ci_u32_e64 v2, null, s41, v200, s2
	.loc	1 30 20                         ; matmul.py:30:20
	global_load_u16 v23, v[1:2], off
.LBB0_137:
	.loc	1 0 20 is_stmt 0                ; matmul.py:0:20
	s_wait_alu depctr_sa_sdst(0)
	s_or_b32 exec_lo, exec_lo, s3
	v_dual_mov_b32 v95, 0 :: v_dual_mov_b32 v96, 0
	.loc	1 30 20                         ; matmul.py:30:20
	s_and_saveexec_b32 s3, vcc_lo
	s_cbranch_execz .LBB0_139
; %bb.138:
	.loc	1 33 18 is_stmt 1               ; matmul.py:33:18
	s_lshl_b64 s[40:41], s[10:11], 1
	s_wait_alu depctr_sa_sdst(0)
	v_add_co_u32 v1, s2, v201, s40
	s_wait_alu depctr_va_sdst(0)
	v_add_co_ci_u32_e64 v2, null, s41, v202, s2
	.loc	1 30 20                         ; matmul.py:30:20
	global_load_u16 v96, v[1:2], off
.LBB0_139:
	.loc	1 0 20 is_stmt 0                ; matmul.py:0:20
	s_wait_alu depctr_sa_sdst(0)
	s_or_b32 exec_lo, exec_lo, s3
	.loc	1 30 20                         ; matmul.py:30:20
	s_and_saveexec_b32 s3, vcc_lo
	s_cbranch_execz .LBB0_141
; %bb.140:
	.loc	1 33 18 is_stmt 1               ; matmul.py:33:18
	s_lshl_b64 s[40:41], s[10:11], 1
	s_wait_alu depctr_sa_sdst(0)
	v_add_co_u32 v1, s2, v203, s40
	s_wait_alu depctr_va_sdst(0)
	v_add_co_ci_u32_e64 v2, null, s41, v204, s2
	.loc	1 30 20                         ; matmul.py:30:20
	global_load_u16 v95, v[1:2], off
.LBB0_141:
	.loc	1 0 20 is_stmt 0                ; matmul.py:0:20
	s_wait_alu depctr_sa_sdst(0)
	s_or_b32 exec_lo, exec_lo, s3
	v_dual_mov_b32 v195, 0 :: v_dual_mov_b32 v196, 0
	.loc	1 30 20                         ; matmul.py:30:20
	s_and_saveexec_b32 s3, vcc_lo
	s_cbranch_execz .LBB0_143
; %bb.142:
	.loc	1 33 18 is_stmt 1               ; matmul.py:33:18
	s_lshl_b64 s[40:41], s[10:11], 1
	s_wait_alu depctr_sa_sdst(0)
	v_add_co_u32 v1, s2, v205, s40
	s_wait_alu depctr_va_sdst(0)
	v_add_co_ci_u32_e64 v2, null, s41, v206, s2
	.loc	1 30 20                         ; matmul.py:30:20
	global_load_u16 v196, v[1:2], off
.LBB0_143:
	.loc	1 0 20 is_stmt 0                ; matmul.py:0:20
	s_wait_alu depctr_sa_sdst(0)
	s_or_b32 exec_lo, exec_lo, s3
	.loc	1 30 20                         ; matmul.py:30:20
	s_and_saveexec_b32 s3, vcc_lo
	s_cbranch_execz .LBB0_145
; %bb.144:
	.loc	1 33 18 is_stmt 1               ; matmul.py:33:18
	s_lshl_b64 s[40:41], s[10:11], 1
	s_wait_alu depctr_sa_sdst(0)
	v_add_co_u32 v1, s2, v207, s40
	s_wait_alu depctr_va_sdst(0)
	v_add_co_ci_u32_e64 v2, null, s41, v208, s2
	.loc	1 30 20                         ; matmul.py:30:20
	global_load_u16 v195, v[1:2], off
.LBB0_145:
	.loc	1 0 20 is_stmt 0                ; matmul.py:0:20
	s_wait_alu depctr_sa_sdst(0)
	s_or_b32 exec_lo, exec_lo, s3
	v_dual_mov_b32 v197, 0 :: v_dual_mov_b32 v198, 0
	.loc	1 30 20                         ; matmul.py:30:20
	s_and_saveexec_b32 s3, vcc_lo
	s_cbranch_execz .LBB0_147
; %bb.146:
	.loc	1 33 18 is_stmt 1               ; matmul.py:33:18
	s_lshl_b64 s[40:41], s[10:11], 1
	s_wait_alu depctr_sa_sdst(0)
	v_add_co_u32 v1, s2, v209, s40
	s_wait_alu depctr_va_sdst(0)
	v_add_co_ci_u32_e64 v2, null, s41, v210, s2
	.loc	1 30 20                         ; matmul.py:30:20
	global_load_u16 v198, v[1:2], off
.LBB0_147:
	.loc	1 0 20 is_stmt 0                ; matmul.py:0:20
	s_wait_alu depctr_sa_sdst(0)
	s_or_b32 exec_lo, exec_lo, s3
	.loc	1 30 20                         ; matmul.py:30:20
	s_and_saveexec_b32 s3, vcc_lo
	s_cbranch_execz .LBB0_149
; %bb.148:
	.loc	1 33 18 is_stmt 1               ; matmul.py:33:18
	s_lshl_b64 s[40:41], s[10:11], 1
	s_wait_alu depctr_sa_sdst(0)
	v_add_co_u32 v1, s2, v211, s40
	s_wait_alu depctr_va_sdst(0)
	v_add_co_ci_u32_e64 v2, null, s41, v212, s2
	.loc	1 30 20                         ; matmul.py:30:20
	global_load_u16 v197, v[1:2], off
.LBB0_149:
	.loc	1 0 20 is_stmt 0                ; matmul.py:0:20
	s_wait_alu depctr_sa_sdst(0)
	s_or_b32 exec_lo, exec_lo, s3
	v_dual_mov_b32 v199, 0 :: v_dual_mov_b32 v200, 0
	.loc	1 30 20                         ; matmul.py:30:20
	s_and_saveexec_b32 s3, vcc_lo
	s_cbranch_execz .LBB0_151
; %bb.150:
	.loc	1 33 18 is_stmt 1               ; matmul.py:33:18
	s_lshl_b64 s[40:41], s[10:11], 1
	s_wait_alu depctr_sa_sdst(0)
	v_add_co_u32 v1, s2, v213, s40
	s_wait_alu depctr_va_sdst(0)
	v_add_co_ci_u32_e64 v2, null, s41, v214, s2
	.loc	1 30 20                         ; matmul.py:30:20
	global_load_u16 v200, v[1:2], off
.LBB0_151:
	.loc	1 0 20 is_stmt 0                ; matmul.py:0:20
	s_wait_alu depctr_sa_sdst(0)
	s_or_b32 exec_lo, exec_lo, s3
	.loc	1 30 20                         ; matmul.py:30:20
	s_and_saveexec_b32 s3, vcc_lo
	s_cbranch_execz .LBB0_153
; %bb.152:
	.loc	1 33 18 is_stmt 1               ; matmul.py:33:18
	s_lshl_b64 s[40:41], s[10:11], 1
	s_wait_alu depctr_sa_sdst(0)
	v_add_co_u32 v1, s2, v215, s40
	s_wait_alu depctr_va_sdst(0)
	v_add_co_ci_u32_e64 v2, null, s41, v216, s2
	.loc	1 30 20                         ; matmul.py:30:20
	global_load_u16 v199, v[1:2], off
.LBB0_153:
	.loc	1 0 20 is_stmt 0                ; matmul.py:0:20
	s_wait_alu depctr_sa_sdst(0)
	s_or_b32 exec_lo, exec_lo, s3
	v_dual_mov_b32 v201, 0 :: v_dual_mov_b32 v202, 0
	.loc	1 30 20                         ; matmul.py:30:20
	s_and_saveexec_b32 s3, vcc_lo
	s_cbranch_execz .LBB0_155
; %bb.154:
	.loc	1 33 18 is_stmt 1               ; matmul.py:33:18
	s_lshl_b64 s[40:41], s[10:11], 1
	s_wait_alu depctr_sa_sdst(0)
	v_add_co_u32 v1, s2, v217, s40
	s_wait_alu depctr_va_sdst(0)
	v_add_co_ci_u32_e64 v2, null, s41, v218, s2
	.loc	1 30 20                         ; matmul.py:30:20
	global_load_u16 v202, v[1:2], off
.LBB0_155:
	.loc	1 0 20 is_stmt 0                ; matmul.py:0:20
	s_wait_alu depctr_sa_sdst(0)
	s_or_b32 exec_lo, exec_lo, s3
	.loc	1 30 20                         ; matmul.py:30:20
	s_and_saveexec_b32 s3, vcc_lo
	s_cbranch_execz .LBB0_157
; %bb.156:
	.loc	1 33 18 is_stmt 1               ; matmul.py:33:18
	s_lshl_b64 s[40:41], s[10:11], 1
	s_wait_alu depctr_sa_sdst(0)
	v_add_co_u32 v1, s2, v219, s40
	s_wait_alu depctr_va_sdst(0)
	v_add_co_ci_u32_e64 v2, null, s41, v220, s2
	.loc	1 30 20                         ; matmul.py:30:20
	global_load_u16 v201, v[1:2], off
.LBB0_157:
	.loc	1 0 20 is_stmt 0                ; matmul.py:0:20
	s_wait_alu depctr_sa_sdst(0)
	s_or_b32 exec_lo, exec_lo, s3
	v_dual_mov_b32 v203, 0 :: v_dual_mov_b32 v204, 0
	.loc	1 30 20                         ; matmul.py:30:20
	s_and_saveexec_b32 s3, vcc_lo
	s_cbranch_execz .LBB0_159
; %bb.158:
	.loc	1 33 18 is_stmt 1               ; matmul.py:33:18
	s_lshl_b64 s[40:41], s[10:11], 1
	s_wait_alu depctr_sa_sdst(0)
	v_add_co_u32 v1, s2, v221, s40
	s_wait_alu depctr_va_sdst(0)
	v_add_co_ci_u32_e64 v2, null, s41, v222, s2
	.loc	1 30 20                         ; matmul.py:30:20
	global_load_u16 v204, v[1:2], off
.LBB0_159:
	.loc	1 0 20 is_stmt 0                ; matmul.py:0:20
	s_wait_alu depctr_sa_sdst(0)
	s_or_b32 exec_lo, exec_lo, s3
	.loc	1 30 20                         ; matmul.py:30:20
	s_and_saveexec_b32 s2, vcc_lo
	s_cbranch_execz .LBB0_161
; %bb.160:
	.loc	1 33 18 is_stmt 1               ; matmul.py:33:18
	s_lshl_b64 s[40:41], s[10:11], 1
	s_wait_alu depctr_sa_sdst(0)
	v_add_co_u32 v1, vcc_lo, v225, s40
	s_wait_alu depctr_va_vcc(0)
	v_add_co_ci_u32_e64 v2, null, s41, v226, vcc_lo
	.loc	1 30 20                         ; matmul.py:30:20
	global_load_u16 v203, v[1:2], off
.LBB0_161:
	.loc	1 0 20 is_stmt 0                ; matmul.py:0:20
	s_wait_alu depctr_sa_sdst(0)
	s_or_b32 exec_lo, exec_lo, s2
	v_lshlrev_b32_e32 v1, 3, v0
	s_wait_loadcnt 0x0
	v_dual_mov_b32 v91, v9 :: v_dual_mov_b32 v90, v8
	v_and_b32_e32 v9, 16, v0
	s_clause 0x1                            ; 8-byte Folded Spill
	scratch_store_b32 off, v0, off offset:40
	scratch_store_b32 off, v98, off offset:36
	v_and_b32_e32 v1, 48, v1
	.loc	1 30 20                         ; matmul.py:30:20
	s_wait_storecnt_dscnt 0x0
	s_barrier_signal -1
	v_dual_mov_b32 v89, v7 :: v_dual_mov_b32 v88, v6
	s_delay_alu instid0(VALU_DEP_2) | instskip(SKIP_2) | instid1(VALU_DEP_3)
	v_lshl_or_b32 v1, v98, 6, v1
	v_dual_mov_b32 v99, v4 :: v_dual_mov_b32 v206, 0
	v_dual_mov_b32 v93, v11 :: v_dual_mov_b32 v92, v10
	v_xor_b32_e32 v1, v1, v9
	.loc	1 34 33 is_stmt 1               ; matmul.py:34:33
	s_lshl_b32 s2, s8, 5
	v_mov_b32_e32 v205, 0
	s_wait_alu depctr_sa_sdst(0)
	s_ashr_i32 s3, s2, 31
	.loc	1 31 51                         ; matmul.py:31:51
	s_cmp_ge_u32 s13, s9
	v_lshl_or_b32 v1, s12, 9, v1
	v_mov_b32_e32 v87, v5
	.loc	1 30 20                         ; matmul.py:30:20
	s_barrier_wait -1
	global_inv scope:SCOPE_SE
	v_xor_b32_e32 v2, 32, v1
	v_add_nc_u32_e32 v98, 0, v1
	s_delay_alu instid0(VALU_DEP_2)
	v_add_nc_u32_e32 v193, 0, v2
	ds_load_b128 v[17:20], v98
	ds_load_b128 v[5:8], v98 offset:2048
	ds_load_b128 v[1:4], v98 offset:4096
	;; [unrolled: 1-line block ×3, first 2 shown]
	ds_load_b128 v[65:68], v193
	ds_load_b128 v[69:72], v193 offset:2048
	ds_load_b128 v[73:76], v193 offset:4096
	;; [unrolled: 1-line block ×3, first 2 shown]
	.loc	1 31 20                         ; matmul.py:31:20
	s_cbranch_scc0 .LBB0_410
; %bb.162:
	.loc	1 31 51 is_stmt 0               ; matmul.py:31:51
	s_cmp_ge_u32 s14, s9
	.loc	1 31 20                         ; matmul.py:31:20
	s_cbranch_scc0 .LBB0_411
.LBB0_163:
	.loc	1 0 20                          ; matmul.py:0:20
	v_dual_mov_b32 v207, 0 :: v_dual_mov_b32 v208, 0
	.loc	1 31 51                         ; matmul.py:31:51
	s_cmp_ge_u32 s15, s9
	.loc	1 31 20                         ; matmul.py:31:20
	s_cbranch_scc0 .LBB0_412
.LBB0_164:
	.loc	1 31 51                         ; matmul.py:31:51
	s_cmp_ge_u32 s23, s9
	.loc	1 31 20                         ; matmul.py:31:20
	s_cbranch_scc0 .LBB0_413
.LBB0_165:
	.loc	1 0 20                          ; matmul.py:0:20
	v_dual_mov_b32 v209, 0 :: v_dual_mov_b32 v210, 0
	.loc	1 31 51                         ; matmul.py:31:51
	s_cmp_ge_u32 s26, s9
	.loc	1 31 20                         ; matmul.py:31:20
	s_cbranch_scc0 .LBB0_414
.LBB0_166:
	.loc	1 31 51                         ; matmul.py:31:51
	s_cmp_ge_u32 s27, s9
	.loc	1 31 20                         ; matmul.py:31:20
	s_cbranch_scc0 .LBB0_415
.LBB0_167:
	.loc	1 0 20                          ; matmul.py:0:20
	v_dual_mov_b32 v211, 0 :: v_dual_mov_b32 v212, 0
	.loc	1 31 51                         ; matmul.py:31:51
	s_cmp_ge_u32 s28, s9
	.loc	1 31 20                         ; matmul.py:31:20
	s_cbranch_scc0 .LBB0_416
.LBB0_168:
	.loc	1 31 51                         ; matmul.py:31:51
	s_cmp_ge_u32 s29, s9
	.loc	1 31 20                         ; matmul.py:31:20
	s_cbranch_scc0 .LBB0_417
.LBB0_169:
	.loc	1 0 20                          ; matmul.py:0:20
	v_dual_mov_b32 v213, 0 :: v_dual_mov_b32 v214, 0
	.loc	1 31 51                         ; matmul.py:31:51
	s_cmp_ge_u32 s30, s9
	.loc	1 31 20                         ; matmul.py:31:20
	s_cbranch_scc0 .LBB0_418
.LBB0_170:
	.loc	1 31 51                         ; matmul.py:31:51
	s_cmp_ge_u32 s31, s9
	.loc	1 31 20                         ; matmul.py:31:20
	s_cbranch_scc0 .LBB0_419
.LBB0_171:
	.loc	1 0 20                          ; matmul.py:0:20
	v_dual_mov_b32 v215, 0 :: v_dual_mov_b32 v216, 0
	.loc	1 31 51                         ; matmul.py:31:51
	s_cmp_ge_u32 s33, s9
	.loc	1 31 20                         ; matmul.py:31:20
	s_cbranch_scc0 .LBB0_420
.LBB0_172:
	.loc	1 31 51                         ; matmul.py:31:51
	s_cmp_ge_u32 s35, s9
	.loc	1 31 20                         ; matmul.py:31:20
	s_cbranch_scc0 .LBB0_421
.LBB0_173:
	.loc	1 0 20                          ; matmul.py:0:20
	v_dual_mov_b32 v217, 0 :: v_dual_mov_b32 v218, 0
	.loc	1 31 51                         ; matmul.py:31:51
	s_cmp_ge_u32 s36, s9
	.loc	1 31 20                         ; matmul.py:31:20
	s_cbranch_scc0 .LBB0_422
.LBB0_174:
	.loc	1 31 51                         ; matmul.py:31:51
	s_cmp_ge_u32 s37, s9
	.loc	1 31 20                         ; matmul.py:31:20
	s_cbranch_scc0 .LBB0_423
.LBB0_175:
	.loc	1 0 20                          ; matmul.py:0:20
	v_dual_mov_b32 v219, 0 :: v_dual_mov_b32 v220, 0
	.loc	1 31 51                         ; matmul.py:31:51
	s_cmp_ge_u32 s38, s9
	.loc	1 31 20                         ; matmul.py:31:20
	s_cbranch_scc1 .LBB0_177
.LBB0_176:
	.loc	1 34 18 is_stmt 1               ; matmul.py:34:18
	s_wait_alu depctr_sa_sdst(0)
	s_lshl_b64 s[40:41], s[2:3], 1
	s_wait_alu depctr_sa_sdst(0)
	v_add_co_u32 v10, vcc_lo, v253, s40
	s_wait_alu depctr_va_vcc(0)
	v_add_co_ci_u32_e64 v11, null, s41, v254, vcc_lo
	.loc	1 31 20                         ; matmul.py:31:20
	global_load_u16 v220, v[10:11], off
.LBB0_177:
	.loc	1 0 20 is_stmt 0                ; matmul.py:0:20
	v_dual_mov_b32 v240, v23 :: v_dual_mov_b32 v239, v22
	v_dual_mov_b32 v238, v21 :: v_dual_mov_b32 v237, v16
	v_dual_mov_b32 v236, v15 :: v_dual_mov_b32 v235, v14
	v_dual_mov_b32 v234, v13 :: v_dual_mov_b32 v233, v12
	.loc	1 31 51                         ; matmul.py:31:51
	s_cmp_ge_u32 s39, s9
	.loc	1 31 20                         ; matmul.py:31:20
	s_cbranch_scc1 .LBB0_179
; %bb.178:
	.loc	1 34 18 is_stmt 1               ; matmul.py:34:18
	s_wait_alu depctr_sa_sdst(0)
	s_lshl_b64 s[8:9], s[2:3], 1
	s_wait_alu depctr_sa_sdst(0)
	v_add_co_u32 v10, vcc_lo, v85, s8
	s_wait_alu depctr_va_vcc(0)
	v_add_co_ci_u32_e64 v11, null, s9, v86, vcc_lo
	.loc	1 31 20                         ; matmul.py:31:20
	global_load_u16 v219, v[10:11], off
.LBB0_179:
	.loc	1 0 20 is_stmt 0                ; matmul.py:0:20
	scratch_load_b32 v0, off, off offset:36 ; 4-byte Folded Reload
	v_lshlrev_b32_e32 v9, 6, v9
	s_and_b32 s8, s25, 32
	.loc	1 31 20                         ; matmul.py:31:20
	s_wait_alu depctr_sa_sdst(0)
	s_delay_alu instid0(VALU_DEP_1)
	v_add3_u32 v9, s8, 0, v9
.Ltmp14:
	.loc	2 43 30 is_stmt 1               ; standard.py:43:30 @[ matmul.py:29:33 ]
	s_ashr_i32 s8, s34, 31
	s_wait_alu depctr_sa_sdst(0)
	s_lshr_b32 s8, s8, 27
	s_wait_alu depctr_sa_sdst(0)
	s_add_co_i32 s34, s34, s8
	s_delay_alu instid0(SALU_CYCLE_1) | instskip(SKIP_2) | instid1(SALU_CYCLE_1)
	s_ashr_i32 s8, s34, 5
.Ltmp15:
	.loc	1 29 22                         ; matmul.py:29:22
	s_wait_alu depctr_sa_sdst(0)
	s_max_i32 s34, s8, 2
	s_cmp_eq_u32 s34, 2
	s_wait_loadcnt 0x0
	v_lshlrev_b32_e32 v10, 1, v0
	s_delay_alu instid0(VALU_DEP_1)
	.loc	1 31 20                         ; matmul.py:31:20
	v_add_nc_u32_e32 v194, v9, v10
	ds_load_u16 v21, v194 offset:8192
	ds_load_u16 v22, v194 offset:8448
	;; [unrolled: 1-line block ×16, first 2 shown]
	s_wait_dscnt 0xe
	ds_load_u16_d16_hi v22, v194 offset:8576
	ds_load_u16_d16_hi v21, v194 offset:8320
	s_wait_dscnt 0xa
	ds_load_u16_d16_hi v225, v194 offset:8384
	ds_load_u16_d16_hi v223, v194 offset:10880
	s_wait_dscnt 0xb
	ds_load_u16_d16_hi v230, v194 offset:10688
	s_wait_dscnt 0xb
	;; [unrolled: 2-line block ×3, first 2 shown]
	ds_load_u16_d16_hi v231, v194 offset:10944
	ds_load_u16_d16_hi v23, v194 offset:8832
	;; [unrolled: 1-line block ×5, first 2 shown]
	s_wait_dscnt 0xf
	ds_load_u16_d16_hi v229, v194 offset:10432
	s_wait_dscnt 0xf
	ds_load_u16_d16_hi v228, v194 offset:9152
	;; [unrolled: 2-line block ×5, first 2 shown]
	.loc	1 32 35                         ; matmul.py:32:35
	s_wait_dscnt 0x7
	v_wmma_f32_16x16x16_bf16 v[57:64], v[21:24], v[17:20], 0
	v_wmma_f32_16x16x16_bf16 v[41:48], v[21:24], v[5:8], 0
	;; [unrolled: 1-line block ×4, first 2 shown]
	s_wait_dscnt 0x1
	v_wmma_f32_16x16x16_bf16 v[49:56], v[225:228], v[17:20], 0
	v_wmma_f32_16x16x16_bf16 v[33:40], v[225:228], v[5:8], 0
	;; [unrolled: 1-line block ×8, first 2 shown]
	s_wait_dscnt 0x0
	v_wmma_f32_16x16x16_bf16 v[49:56], v[229:232], v[65:68], v[49:56]
	v_wmma_f32_16x16x16_bf16 v[33:40], v[229:232], v[69:72], v[33:40]
	;; [unrolled: 1-line block ×4, first 2 shown]
	.loc	1 30 20                         ; matmul.py:30:20
	s_barrier_signal -1
	s_barrier_wait -1
	global_inv scope:SCOPE_SE
	ds_store_b16 v103, v99
	ds_store_b16 v103, v87 offset:512
	ds_store_b16 v103, v88 offset:1024
	;; [unrolled: 1-line block ×31, first 2 shown]
	.loc	1 31 20                         ; matmul.py:31:20
	ds_store_b16 v97, v206 offset:8192
	ds_store_b16 v97, v205 offset:8448
	;; [unrolled: 1-line block ×16, first 2 shown]
	.loc	1 29 22                         ; matmul.py:29:22
	s_cbranch_scc1 .LBB0_278
; %bb.180:                              ; %.peel.next
	s_lshl_b64 s[8:9], s[2:3], 2
	s_lshl_b64 s[40:41], s[10:11], 2
	s_wait_alu depctr_sa_sdst(0)
	s_add_nc_u64 s[6:7], s[6:7], s[8:9]
	s_lshl_b64 s[8:9], s[2:3], 1
	s_add_nc_u64 s[4:5], s[4:5], s[40:41]
	s_lshl_b64 s[10:11], s[10:11], 1
	s_add_co_i32 s3, s34, -2
	s_sub_co_i32 s22, s22, 64
	s_branch .LBB0_182
.LBB0_181:                              ;   in Loop: Header=BB0_182 Depth=1
	.loc	1 31 20                         ; matmul.py:31:20
	ds_load_u16 v244, v194 offset:8448
	ds_load_u16 v243, v194 offset:8192
	;; [unrolled: 1-line block ×8, first 2 shown]
	.loc	1 29 22                         ; matmul.py:29:22
	s_add_co_i32 s3, s3, -1
	s_sub_co_i32 s22, s22, 32
	s_add_nc_u64 s[6:7], s[6:7], s[8:9]
	s_wait_alu depctr_sa_sdst(0)
	s_cmp_lg_u32 s3, 0
	s_add_nc_u64 s[4:5], s[4:5], s[10:11]
	.loc	1 31 20                         ; matmul.py:31:20
	s_wait_dscnt 0x3
	ds_load_u16_d16_hi v247, v194 offset:10432
	ds_load_u16 v251, v194 offset:10240
	ds_load_u16 v99, v194 offset:8256
	ds_load_u16 v102, v194 offset:9024
	ds_load_u16 v101, v194 offset:8768
	ds_load_u16 v100, v194 offset:8512
	ds_load_u16_d16_hi v244, v194 offset:8576
	ds_load_u16_d16_hi v243, v194 offset:8320
	s_wait_dscnt 0xa
	ds_load_u16_d16_hi v252, v194 offset:10624
	s_wait_dscnt 0xa
	ds_load_u16_d16_hi v253, v194 offset:10880
	s_wait_dscnt 0xa
	ds_load_u16_d16_hi v254, v194 offset:11136
	ds_load_u16 v249, v194 offset:10816
	ds_load_u16 v250, v194 offset:11072
	s_wait_dscnt 0xa
	ds_load_u16_d16_hi v99, v194 offset:8384
	ds_load_u16_d16_hi v245, v194 offset:8832
	ds_load_u16_d16_hi v246, v194 offset:9088
	s_wait_dscnt 0xc
	ds_load_u16_d16_hi v102, v194 offset:9152
	ds_load_u16_d16_hi v251, v194 offset:10368
	ds_load_u16 v248, v194 offset:10560
	s_wait_dscnt 0xe
	ds_load_u16_d16_hi v101, v194 offset:8896
	s_wait_dscnt 0xe
	ds_load_u16_d16_hi v100, v194 offset:8640
	;; [unrolled: 2-line block ×3, first 2 shown]
	ds_load_u16_d16_hi v249, v194 offset:10944
	ds_load_u16_d16_hi v250, v194 offset:11200
	.loc	1 32 35                         ; matmul.py:32:35
	v_wmma_f32_16x16x16_bf16 v[57:64], v[243:246], v[81:84], v[57:64]
	v_wmma_f32_16x16x16_bf16 v[41:48], v[243:246], v[85:88], v[41:48]
	;; [unrolled: 1-line block ×4, first 2 shown]
	s_wait_dscnt 0x3
	v_wmma_f32_16x16x16_bf16 v[49:56], v[99:102], v[81:84], v[49:56]
	v_wmma_f32_16x16x16_bf16 v[33:40], v[99:102], v[85:88], v[33:40]
	;; [unrolled: 1-line block ×8, first 2 shown]
	s_wait_dscnt 0x0
	v_wmma_f32_16x16x16_bf16 v[49:56], v[247:250], v[65:68], v[49:56]
	v_wmma_f32_16x16x16_bf16 v[33:40], v[247:250], v[69:72], v[33:40]
	;; [unrolled: 1-line block ×4, first 2 shown]
	.loc	1 30 20                         ; matmul.py:30:20
	s_wait_loadcnt 0x0
	s_barrier_signal -1
	s_barrier_wait -1
	global_inv scope:SCOPE_SE
	ds_store_b16 v103, v196
	ds_store_b16 v103, v198 offset:512
	ds_store_b16 v103, v200 offset:1024
	;; [unrolled: 1-line block ×31, first 2 shown]
	.loc	1 31 20                         ; matmul.py:31:20
	ds_store_b16 v97, v228 offset:8192
	ds_store_b16 v97, v227 offset:8448
	;; [unrolled: 1-line block ×16, first 2 shown]
	s_cbranch_scc0 .LBB0_278
.LBB0_182:                              ; =>This Inner Loop Header: Depth=1
	.loc	1 30 51                         ; matmul.py:30:51
	s_wait_alu depctr_sa_sdst(0)
	v_cmp_gt_i32_e32 vcc_lo, s22, v104
	v_dual_mov_b32 v195, 0 :: v_dual_mov_b32 v196, 0
	.loc	1 30 20 is_stmt 0               ; matmul.py:30:20
	s_and_saveexec_b32 s34, vcc_lo
	s_cbranch_execz .LBB0_184
; %bb.183:                              ;   in Loop: Header=BB0_182 Depth=1
	.loc	1 0 20                          ; matmul.py:0:20
	scratch_load_b64 v[65:66], off, off     ; 8-byte Folded Reload
	.loc	1 33 18 is_stmt 1               ; matmul.py:33:18
	s_wait_loadcnt 0x0
	v_add_co_u32 v65, s2, s4, v65
	s_wait_alu depctr_va_sdst(0)
	v_add_co_ci_u32_e64 v66, null, s5, v66, s2
	.loc	1 30 20                         ; matmul.py:30:20
	global_load_u16 v196, v[65:66], off
.LBB0_184:                              ;   in Loop: Header=BB0_182 Depth=1
	.loc	1 0 20 is_stmt 0                ; matmul.py:0:20
	s_or_b32 exec_lo, exec_lo, s34
	.loc	1 30 20                         ; matmul.py:30:20
	s_and_saveexec_b32 s34, vcc_lo
	s_cbranch_execz .LBB0_186
; %bb.185:                              ;   in Loop: Header=BB0_182 Depth=1
	.loc	1 0 20                          ; matmul.py:0:20
	scratch_load_b64 v[65:66], off, off offset:8 ; 8-byte Folded Reload
	.loc	1 33 18 is_stmt 1               ; matmul.py:33:18
	s_wait_loadcnt 0x0
	v_add_co_u32 v65, s2, s4, v65
	s_wait_alu depctr_va_sdst(0)
	v_add_co_ci_u32_e64 v66, null, s5, v66, s2
	.loc	1 30 20                         ; matmul.py:30:20
	global_load_u16 v195, v[65:66], off
.LBB0_186:                              ;   in Loop: Header=BB0_182 Depth=1
	.loc	1 0 20 is_stmt 0                ; matmul.py:0:20
	s_or_b32 exec_lo, exec_lo, s34
	v_dual_mov_b32 v197, 0 :: v_dual_mov_b32 v198, 0
	.loc	1 30 20                         ; matmul.py:30:20
	s_and_saveexec_b32 s34, vcc_lo
	s_cbranch_execz .LBB0_188
; %bb.187:                              ;   in Loop: Header=BB0_182 Depth=1
	.loc	1 0 20                          ; matmul.py:0:20
	scratch_load_b64 v[65:66], off, off offset:16 ; 8-byte Folded Reload
	.loc	1 33 18 is_stmt 1               ; matmul.py:33:18
	s_wait_loadcnt 0x0
	v_add_co_u32 v65, s2, s4, v65
	s_wait_alu depctr_va_sdst(0)
	v_add_co_ci_u32_e64 v66, null, s5, v66, s2
	.loc	1 30 20                         ; matmul.py:30:20
	global_load_u16 v198, v[65:66], off
.LBB0_188:                              ;   in Loop: Header=BB0_182 Depth=1
	.loc	1 0 20 is_stmt 0                ; matmul.py:0:20
	s_or_b32 exec_lo, exec_lo, s34
	.loc	1 30 20                         ; matmul.py:30:20
	s_and_saveexec_b32 s34, vcc_lo
	s_cbranch_execz .LBB0_190
; %bb.189:                              ;   in Loop: Header=BB0_182 Depth=1
	.loc	1 0 20                          ; matmul.py:0:20
	scratch_load_b64 v[65:66], off, off offset:24 ; 8-byte Folded Reload
	.loc	1 33 18 is_stmt 1               ; matmul.py:33:18
	s_wait_loadcnt 0x0
	v_add_co_u32 v65, s2, s4, v65
	s_wait_alu depctr_va_sdst(0)
	v_add_co_ci_u32_e64 v66, null, s5, v66, s2
	.loc	1 30 20                         ; matmul.py:30:20
	global_load_u16 v197, v[65:66], off
.LBB0_190:                              ;   in Loop: Header=BB0_182 Depth=1
	.loc	1 0 20 is_stmt 0                ; matmul.py:0:20
	s_or_b32 exec_lo, exec_lo, s34
	v_dual_mov_b32 v199, 0 :: v_dual_mov_b32 v200, 0
	.loc	1 30 20                         ; matmul.py:30:20
	s_and_saveexec_b32 s34, vcc_lo
	s_cbranch_execz .LBB0_192
; %bb.191:                              ;   in Loop: Header=BB0_182 Depth=1
	.loc	1 33 18 is_stmt 1               ; matmul.py:33:18
	v_add_co_u32 v65, s2, s4, v105
	s_wait_alu depctr_va_sdst(0)
	v_add_co_ci_u32_e64 v66, null, s5, v106, s2
	.loc	1 30 20                         ; matmul.py:30:20
	global_load_u16 v200, v[65:66], off
.LBB0_192:                              ;   in Loop: Header=BB0_182 Depth=1
	.loc	1 0 20 is_stmt 0                ; matmul.py:0:20
	s_or_b32 exec_lo, exec_lo, s34
	.loc	1 30 20                         ; matmul.py:30:20
	s_and_saveexec_b32 s34, vcc_lo
	s_cbranch_execz .LBB0_194
; %bb.193:                              ;   in Loop: Header=BB0_182 Depth=1
	.loc	1 33 18 is_stmt 1               ; matmul.py:33:18
	v_add_co_u32 v65, s2, s4, v107
	s_wait_alu depctr_va_sdst(0)
	v_add_co_ci_u32_e64 v66, null, s5, v108, s2
	.loc	1 30 20                         ; matmul.py:30:20
	global_load_u16 v199, v[65:66], off
.LBB0_194:                              ;   in Loop: Header=BB0_182 Depth=1
	.loc	1 0 20 is_stmt 0                ; matmul.py:0:20
	s_or_b32 exec_lo, exec_lo, s34
	v_dual_mov_b32 v201, 0 :: v_dual_mov_b32 v202, 0
	.loc	1 30 20                         ; matmul.py:30:20
	s_and_saveexec_b32 s34, vcc_lo
	s_cbranch_execz .LBB0_196
; %bb.195:                              ;   in Loop: Header=BB0_182 Depth=1
	.loc	1 33 18 is_stmt 1               ; matmul.py:33:18
	v_add_co_u32 v65, s2, s4, v109
	s_wait_alu depctr_va_sdst(0)
	v_add_co_ci_u32_e64 v66, null, s5, v110, s2
	.loc	1 30 20                         ; matmul.py:30:20
	global_load_u16 v202, v[65:66], off
.LBB0_196:                              ;   in Loop: Header=BB0_182 Depth=1
	.loc	1 0 20 is_stmt 0                ; matmul.py:0:20
	s_or_b32 exec_lo, exec_lo, s34
	.loc	1 30 20                         ; matmul.py:30:20
	s_and_saveexec_b32 s34, vcc_lo
	s_cbranch_execz .LBB0_198
; %bb.197:                              ;   in Loop: Header=BB0_182 Depth=1
	.loc	1 33 18 is_stmt 1               ; matmul.py:33:18
	v_add_co_u32 v65, s2, s4, v111
	s_wait_alu depctr_va_sdst(0)
	v_add_co_ci_u32_e64 v66, null, s5, v112, s2
	.loc	1 30 20                         ; matmul.py:30:20
	global_load_u16 v201, v[65:66], off
.LBB0_198:                              ;   in Loop: Header=BB0_182 Depth=1
	;; [unrolled: 27-line block ×13, first 2 shown]
	.loc	1 0 20 is_stmt 0                ; matmul.py:0:20
	s_or_b32 exec_lo, exec_lo, s34
	v_dual_mov_b32 v225, 0 :: v_dual_mov_b32 v226, 0
	.loc	1 30 20                         ; matmul.py:30:20
	s_and_saveexec_b32 s34, vcc_lo
	s_cbranch_execz .LBB0_244
; %bb.243:                              ;   in Loop: Header=BB0_182 Depth=1
	.loc	1 33 18 is_stmt 1               ; matmul.py:33:18
	v_add_co_u32 v65, s2, s4, v157
	s_wait_alu depctr_va_sdst(0)
	v_add_co_ci_u32_e64 v66, null, s5, v158, s2
	.loc	1 30 20                         ; matmul.py:30:20
	global_load_u16 v226, v[65:66], off
.LBB0_244:                              ;   in Loop: Header=BB0_182 Depth=1
	.loc	1 0 20 is_stmt 0                ; matmul.py:0:20
	s_or_b32 exec_lo, exec_lo, s34
	.loc	1 30 20                         ; matmul.py:30:20
	s_and_saveexec_b32 s2, vcc_lo
	s_cbranch_execz .LBB0_246
; %bb.245:                              ;   in Loop: Header=BB0_182 Depth=1
	.loc	1 34 18 is_stmt 1               ; matmul.py:34:18
	v_add_co_u32 v65, vcc_lo, s4, v159
	s_wait_alu depctr_va_vcc(0)
	v_add_co_ci_u32_e64 v66, null, s5, v160, vcc_lo
	.loc	1 30 20                         ; matmul.py:30:20
	global_load_u16 v225, v[65:66], off
.LBB0_246:                              ;   in Loop: Header=BB0_182 Depth=1
	.loc	1 0 20 is_stmt 0                ; matmul.py:0:20
	s_wait_alu depctr_sa_sdst(0)
	s_or_b32 exec_lo, exec_lo, s2
	.loc	1 30 20                         ; matmul.py:30:20
	s_wait_loadcnt_dscnt 0x0
	s_barrier_signal -1
	v_dual_mov_b32 v227, 0 :: v_dual_mov_b32 v228, 0
	.loc	1 31 51 is_stmt 1               ; matmul.py:31:51
	s_cmp_ge_i32 s13, s22
	.loc	1 30 20                         ; matmul.py:30:20
	s_barrier_wait -1
	global_inv scope:SCOPE_SE
	ds_load_b128 v[81:84], v98
	ds_load_b128 v[85:88], v98 offset:2048
	ds_load_b128 v[89:92], v98 offset:4096
	;; [unrolled: 1-line block ×3, first 2 shown]
	ds_load_b128 v[65:68], v193
	ds_load_b128 v[69:72], v193 offset:2048
	ds_load_b128 v[73:76], v193 offset:4096
	;; [unrolled: 1-line block ×3, first 2 shown]
	s_cbranch_scc0 .LBB0_262
; %bb.247:                              ;   in Loop: Header=BB0_182 Depth=1
	.loc	1 31 51                         ; matmul.py:31:51
	s_cmp_ge_i32 s14, s22
	s_cbranch_scc0 .LBB0_263
.LBB0_248:                              ;   in Loop: Header=BB0_182 Depth=1
	.loc	1 0 51 is_stmt 0                ; matmul.py:0:51
	v_dual_mov_b32 v229, 0 :: v_dual_mov_b32 v230, 0
	.loc	1 31 51                         ; matmul.py:31:51
	s_cmp_ge_i32 s15, s22
	s_cbranch_scc0 .LBB0_264
.LBB0_249:                              ;   in Loop: Header=BB0_182 Depth=1
	s_cmp_ge_i32 s23, s22
	s_cbranch_scc0 .LBB0_265
.LBB0_250:                              ;   in Loop: Header=BB0_182 Depth=1
	.loc	1 0 51                          ; matmul.py:0:51
	v_dual_mov_b32 v231, 0 :: v_dual_mov_b32 v232, 0
	.loc	1 31 51                         ; matmul.py:31:51
	s_cmp_ge_i32 s26, s22
	s_cbranch_scc0 .LBB0_266
.LBB0_251:                              ;   in Loop: Header=BB0_182 Depth=1
	s_cmp_ge_i32 s27, s22
	s_cbranch_scc0 .LBB0_267
.LBB0_252:                              ;   in Loop: Header=BB0_182 Depth=1
	.loc	1 0 51                          ; matmul.py:0:51
	v_dual_mov_b32 v233, 0 :: v_dual_mov_b32 v234, 0
	.loc	1 31 51                         ; matmul.py:31:51
	s_cmp_ge_i32 s28, s22
	s_cbranch_scc0 .LBB0_268
.LBB0_253:                              ;   in Loop: Header=BB0_182 Depth=1
	s_cmp_ge_i32 s29, s22
	s_cbranch_scc0 .LBB0_269
.LBB0_254:                              ;   in Loop: Header=BB0_182 Depth=1
	.loc	1 0 51                          ; matmul.py:0:51
	v_dual_mov_b32 v235, 0 :: v_dual_mov_b32 v236, 0
	.loc	1 31 51                         ; matmul.py:31:51
	s_cmp_ge_i32 s30, s22
	s_cbranch_scc0 .LBB0_270
.LBB0_255:                              ;   in Loop: Header=BB0_182 Depth=1
	s_cmp_ge_i32 s31, s22
	s_cbranch_scc0 .LBB0_271
.LBB0_256:                              ;   in Loop: Header=BB0_182 Depth=1
	.loc	1 0 51                          ; matmul.py:0:51
	v_dual_mov_b32 v237, 0 :: v_dual_mov_b32 v238, 0
	.loc	1 31 51                         ; matmul.py:31:51
	s_cmp_ge_i32 s33, s22
	s_cbranch_scc0 .LBB0_272
.LBB0_257:                              ;   in Loop: Header=BB0_182 Depth=1
	s_cmp_ge_i32 s35, s22
	s_cbranch_scc0 .LBB0_273
.LBB0_258:                              ;   in Loop: Header=BB0_182 Depth=1
	.loc	1 0 51                          ; matmul.py:0:51
	v_dual_mov_b32 v239, 0 :: v_dual_mov_b32 v240, 0
	.loc	1 31 51                         ; matmul.py:31:51
	s_cmp_ge_i32 s36, s22
	s_cbranch_scc0 .LBB0_274
.LBB0_259:                              ;   in Loop: Header=BB0_182 Depth=1
	s_cmp_ge_i32 s37, s22
	s_cbranch_scc0 .LBB0_275
.LBB0_260:                              ;   in Loop: Header=BB0_182 Depth=1
	.loc	1 0 51                          ; matmul.py:0:51
	v_dual_mov_b32 v241, 0 :: v_dual_mov_b32 v242, 0
	.loc	1 31 51                         ; matmul.py:31:51
	s_cmp_ge_i32 s38, s22
	s_cbranch_scc0 .LBB0_276
.LBB0_261:                              ;   in Loop: Header=BB0_182 Depth=1
	s_cmp_ge_i32 s39, s22
	s_cbranch_scc1 .LBB0_181
	s_branch .LBB0_277
.LBB0_262:                              ;   in Loop: Header=BB0_182 Depth=1
	.loc	1 34 18 is_stmt 1               ; matmul.py:34:18
	v_add_co_u32 v99, vcc_lo, s6, v161
	s_wait_alu depctr_va_vcc(0)
	v_add_co_ci_u32_e64 v100, null, s7, v162, vcc_lo
	.loc	1 31 20                         ; matmul.py:31:20
	global_load_u16 v228, v[99:100], off
	.loc	1 31 51 is_stmt 0               ; matmul.py:31:51
	s_cmp_ge_i32 s14, s22
	s_cbranch_scc1 .LBB0_248
.LBB0_263:                              ;   in Loop: Header=BB0_182 Depth=1
	.loc	1 34 18 is_stmt 1               ; matmul.py:34:18
	v_add_co_u32 v99, vcc_lo, s6, v163
	s_wait_alu depctr_va_vcc(0)
	v_add_co_ci_u32_e64 v100, null, s7, v164, vcc_lo
	.loc	1 31 20                         ; matmul.py:31:20
	global_load_u16 v227, v[99:100], off
	v_dual_mov_b32 v229, 0 :: v_dual_mov_b32 v230, 0
	.loc	1 31 51 is_stmt 0               ; matmul.py:31:51
	s_cmp_ge_i32 s15, s22
	s_cbranch_scc1 .LBB0_249
.LBB0_264:                              ;   in Loop: Header=BB0_182 Depth=1
	.loc	1 34 18 is_stmt 1               ; matmul.py:34:18
	v_add_co_u32 v99, vcc_lo, s6, v165
	s_wait_alu depctr_va_vcc(0)
	v_add_co_ci_u32_e64 v100, null, s7, v166, vcc_lo
	.loc	1 31 20                         ; matmul.py:31:20
	global_load_u16 v230, v[99:100], off
	.loc	1 31 51 is_stmt 0               ; matmul.py:31:51
	s_cmp_ge_i32 s23, s22
	s_cbranch_scc1 .LBB0_250
.LBB0_265:                              ;   in Loop: Header=BB0_182 Depth=1
	.loc	1 34 18 is_stmt 1               ; matmul.py:34:18
	v_add_co_u32 v99, vcc_lo, s6, v167
	s_wait_alu depctr_va_vcc(0)
	v_add_co_ci_u32_e64 v100, null, s7, v168, vcc_lo
	.loc	1 31 20                         ; matmul.py:31:20
	global_load_u16 v229, v[99:100], off
	v_dual_mov_b32 v231, 0 :: v_dual_mov_b32 v232, 0
	.loc	1 31 51 is_stmt 0               ; matmul.py:31:51
	s_cmp_ge_i32 s26, s22
	s_cbranch_scc1 .LBB0_251
.LBB0_266:                              ;   in Loop: Header=BB0_182 Depth=1
	.loc	1 34 18 is_stmt 1               ; matmul.py:34:18
	v_add_co_u32 v99, vcc_lo, s6, v169
	s_wait_alu depctr_va_vcc(0)
	v_add_co_ci_u32_e64 v100, null, s7, v170, vcc_lo
	.loc	1 31 20                         ; matmul.py:31:20
	global_load_u16 v232, v[99:100], off
	.loc	1 31 51 is_stmt 0               ; matmul.py:31:51
	s_cmp_ge_i32 s27, s22
	s_cbranch_scc1 .LBB0_252
.LBB0_267:                              ;   in Loop: Header=BB0_182 Depth=1
	.loc	1 34 18 is_stmt 1               ; matmul.py:34:18
	v_add_co_u32 v99, vcc_lo, s6, v171
	s_wait_alu depctr_va_vcc(0)
	v_add_co_ci_u32_e64 v100, null, s7, v172, vcc_lo
	.loc	1 31 20                         ; matmul.py:31:20
	global_load_u16 v231, v[99:100], off
	v_dual_mov_b32 v233, 0 :: v_dual_mov_b32 v234, 0
	.loc	1 31 51 is_stmt 0               ; matmul.py:31:51
	s_cmp_ge_i32 s28, s22
	s_cbranch_scc1 .LBB0_253
.LBB0_268:                              ;   in Loop: Header=BB0_182 Depth=1
	.loc	1 34 18 is_stmt 1               ; matmul.py:34:18
	v_add_co_u32 v99, vcc_lo, s6, v173
	s_wait_alu depctr_va_vcc(0)
	v_add_co_ci_u32_e64 v100, null, s7, v174, vcc_lo
	.loc	1 31 20                         ; matmul.py:31:20
	global_load_u16 v234, v[99:100], off
	.loc	1 31 51 is_stmt 0               ; matmul.py:31:51
	s_cmp_ge_i32 s29, s22
	s_cbranch_scc1 .LBB0_254
.LBB0_269:                              ;   in Loop: Header=BB0_182 Depth=1
	.loc	1 34 18 is_stmt 1               ; matmul.py:34:18
	v_add_co_u32 v99, vcc_lo, s6, v175
	s_wait_alu depctr_va_vcc(0)
	v_add_co_ci_u32_e64 v100, null, s7, v176, vcc_lo
	.loc	1 31 20                         ; matmul.py:31:20
	global_load_u16 v233, v[99:100], off
	v_dual_mov_b32 v235, 0 :: v_dual_mov_b32 v236, 0
	.loc	1 31 51 is_stmt 0               ; matmul.py:31:51
	s_cmp_ge_i32 s30, s22
	s_cbranch_scc1 .LBB0_255
.LBB0_270:                              ;   in Loop: Header=BB0_182 Depth=1
	.loc	1 34 18 is_stmt 1               ; matmul.py:34:18
	v_add_co_u32 v99, vcc_lo, s6, v177
	s_wait_alu depctr_va_vcc(0)
	v_add_co_ci_u32_e64 v100, null, s7, v178, vcc_lo
	.loc	1 31 20                         ; matmul.py:31:20
	global_load_u16 v236, v[99:100], off
	.loc	1 31 51 is_stmt 0               ; matmul.py:31:51
	s_cmp_ge_i32 s31, s22
	s_cbranch_scc1 .LBB0_256
.LBB0_271:                              ;   in Loop: Header=BB0_182 Depth=1
	.loc	1 34 18 is_stmt 1               ; matmul.py:34:18
	v_add_co_u32 v99, vcc_lo, s6, v179
	s_wait_alu depctr_va_vcc(0)
	v_add_co_ci_u32_e64 v100, null, s7, v180, vcc_lo
	.loc	1 31 20                         ; matmul.py:31:20
	global_load_u16 v235, v[99:100], off
	v_dual_mov_b32 v237, 0 :: v_dual_mov_b32 v238, 0
	.loc	1 31 51 is_stmt 0               ; matmul.py:31:51
	s_cmp_ge_i32 s33, s22
	s_cbranch_scc1 .LBB0_257
.LBB0_272:                              ;   in Loop: Header=BB0_182 Depth=1
	.loc	1 34 18 is_stmt 1               ; matmul.py:34:18
	v_add_co_u32 v99, vcc_lo, s6, v181
	s_wait_alu depctr_va_vcc(0)
	v_add_co_ci_u32_e64 v100, null, s7, v182, vcc_lo
	.loc	1 31 20                         ; matmul.py:31:20
	global_load_u16 v238, v[99:100], off
	.loc	1 31 51 is_stmt 0               ; matmul.py:31:51
	s_cmp_ge_i32 s35, s22
	s_cbranch_scc1 .LBB0_258
.LBB0_273:                              ;   in Loop: Header=BB0_182 Depth=1
	.loc	1 34 18 is_stmt 1               ; matmul.py:34:18
	v_add_co_u32 v99, vcc_lo, s6, v183
	s_wait_alu depctr_va_vcc(0)
	v_add_co_ci_u32_e64 v100, null, s7, v184, vcc_lo
	.loc	1 31 20                         ; matmul.py:31:20
	global_load_u16 v237, v[99:100], off
	v_dual_mov_b32 v239, 0 :: v_dual_mov_b32 v240, 0
	.loc	1 31 51 is_stmt 0               ; matmul.py:31:51
	s_cmp_ge_i32 s36, s22
	s_cbranch_scc1 .LBB0_259
.LBB0_274:                              ;   in Loop: Header=BB0_182 Depth=1
	.loc	1 34 18 is_stmt 1               ; matmul.py:34:18
	v_add_co_u32 v99, vcc_lo, s6, v185
	s_wait_alu depctr_va_vcc(0)
	v_add_co_ci_u32_e64 v100, null, s7, v186, vcc_lo
	.loc	1 31 20                         ; matmul.py:31:20
	global_load_u16 v240, v[99:100], off
	.loc	1 31 51 is_stmt 0               ; matmul.py:31:51
	s_cmp_ge_i32 s37, s22
	s_cbranch_scc1 .LBB0_260
.LBB0_275:                              ;   in Loop: Header=BB0_182 Depth=1
	.loc	1 34 18 is_stmt 1               ; matmul.py:34:18
	v_add_co_u32 v99, vcc_lo, s6, v187
	s_wait_alu depctr_va_vcc(0)
	v_add_co_ci_u32_e64 v100, null, s7, v188, vcc_lo
	.loc	1 31 20                         ; matmul.py:31:20
	global_load_u16 v239, v[99:100], off
	v_dual_mov_b32 v241, 0 :: v_dual_mov_b32 v242, 0
	.loc	1 31 51 is_stmt 0               ; matmul.py:31:51
	s_cmp_ge_i32 s38, s22
	s_cbranch_scc1 .LBB0_261
.LBB0_276:                              ;   in Loop: Header=BB0_182 Depth=1
	.loc	1 34 18 is_stmt 1               ; matmul.py:34:18
	v_add_co_u32 v99, vcc_lo, s6, v189
	s_wait_alu depctr_va_vcc(0)
	v_add_co_ci_u32_e64 v100, null, s7, v190, vcc_lo
	.loc	1 31 20                         ; matmul.py:31:20
	global_load_u16 v242, v[99:100], off
	.loc	1 31 51 is_stmt 0               ; matmul.py:31:51
	s_cmp_ge_i32 s39, s22
	s_cbranch_scc1 .LBB0_181
.LBB0_277:                              ;   in Loop: Header=BB0_182 Depth=1
	.loc	1 29 22 is_stmt 1               ; matmul.py:29:22
	v_add_co_u32 v99, vcc_lo, s6, v191
	s_wait_alu depctr_va_vcc(0)
	v_add_co_ci_u32_e64 v100, null, s7, v192, vcc_lo
	.loc	1 31 20                         ; matmul.py:31:20
	global_load_u16 v241, v[99:100], off
	s_branch .LBB0_181
.LBB0_278:                              ; %Flow400
	.loc	1 0 20 is_stmt 0                ; matmul.py:0:20
	s_clause 0x1                            ; 8-byte Folded Reload
	scratch_load_b32 v0, off, off offset:40
	scratch_load_b32 v98, off, off offset:36
.LBB0_279:                              ; %Flow401
	s_load_b64 s[22:23], s[0:1], 0x34
	.loc	1 30 20 is_stmt 1               ; matmul.py:30:20
	s_wait_storecnt 0x0
	s_wait_loadcnt_dscnt 0x0
	s_barrier_signal -1
	.loc	1 32 35                         ; matmul.py:32:35
	s_and_not1_b32 vcc_lo, exec_lo, s17
	.loc	1 30 20                         ; matmul.py:30:20
	s_barrier_wait -1
	global_inv scope:SCOPE_SE
	.loc	1 32 35                         ; matmul.py:32:35
	s_wait_alu depctr_sa_sdst(0)
	s_cbranch_vccnz .LBB0_281
; %bb.280:
	.loc	1 0 35 is_stmt 0                ; matmul.py:0:35
	v_dual_mov_b32 v113, v98 :: v_dual_and_b32 v68, 16, v0
	.loc	1 31 20 is_stmt 1               ; matmul.py:31:20
	s_and_b32 s0, s25, 32
	.loc	1 30 20                         ; matmul.py:30:20
	v_lshlrev_b32_e32 v66, 3, v0
	s_delay_alu instid0(VALU_DEP_2) | instskip(NEXT) | instid1(VALU_DEP_2)
	.loc	1 31 20                         ; matmul.py:31:20
	v_lshlrev_b32_e32 v65, 6, v68
	.loc	1 30 20                         ; matmul.py:30:20
	v_and_b32_e32 v66, 48, v66
	s_delay_alu instid0(VALU_DEP_2) | instskip(NEXT) | instid1(VALU_DEP_2)
	.loc	1 31 20                         ; matmul.py:31:20
	v_add3_u32 v65, s0, 0, v65
	.loc	1 30 20                         ; matmul.py:30:20
	v_lshl_or_b32 v67, v98, 6, v66
	s_delay_alu instid0(VALU_DEP_2)
	.loc	1 31 20                         ; matmul.py:31:20
	v_lshl_add_u32 v101, v98, 1, v65
	ds_load_u16 v72, v101 offset:9024
	ds_load_u16 v66, v101 offset:10496
	ds_load_u16 v65, v101 offset:10240
	.loc	1 30 20                         ; matmul.py:30:20
	v_xor_b32_e32 v0, v67, v68
	.loc	1 31 20                         ; matmul.py:31:20
	ds_load_u16 v78, v101 offset:10560
	ds_load_u16 v67, v101 offset:10752
	;; [unrolled: 1-line block ×8, first 2 shown]
	s_wait_dscnt 0x8
	ds_load_u16_d16_hi v65, v101 offset:10368
	ds_load_u16 v76, v101 offset:8960
	ds_load_u16 v75, v101 offset:8704
	;; [unrolled: 1-line block ×3, first 2 shown]
	.loc	1 30 20                         ; matmul.py:30:20
	v_lshl_or_b32 v0, s12, 9, v0
	.loc	1 31 20                         ; matmul.py:31:20
	ds_load_u16 v68, v101 offset:11008
	ds_load_u16 v77, v101 offset:10304
	ds_load_u16_d16_hi v72, v101 offset:9152
	ds_load_u16_d16_hi v66, v101 offset:10624
	.loc	1 30 20                         ; matmul.py:30:20
	v_add_nc_u32_e32 v97, 0, v0
	v_xad_u32 v0, v0, 32, 0
	ds_load_b128 v[81:84], v97 offset:2048
	ds_load_b128 v[85:88], v97
	.loc	1 31 20                         ; matmul.py:31:20
	s_wait_dscnt 0xc
	ds_load_u16_d16_hi v74, v101 offset:8576
	ds_load_u16_d16_hi v69, v101 offset:8384
	s_wait_dscnt 0xd
	ds_load_u16_d16_hi v71, v101 offset:8896
	s_wait_dscnt 0xd
	;; [unrolled: 2-line block ×5, first 2 shown]
	ds_load_u16_d16_hi v73, v101 offset:8320
	.loc	1 30 20                         ; matmul.py:30:20
	ds_load_b128 v[89:92], v0
	ds_load_b128 v[93:96], v97 offset:6144
	ds_load_b128 v[97:100], v97 offset:4096
	.loc	1 31 20                         ; matmul.py:31:20
	ds_load_u16_d16_hi v67, v101 offset:10880
	ds_load_u16_d16_hi v78, v101 offset:10688
	;; [unrolled: 1-line block ×4, first 2 shown]
	s_wait_dscnt 0x13
	ds_load_u16_d16_hi v68, v101 offset:11136
	s_wait_dscnt 0x13
	ds_load_u16_d16_hi v77, v101 offset:10432
	.loc	1 30 20                         ; matmul.py:30:20
	ds_load_b128 v[101:104], v0 offset:2048
	ds_load_b128 v[105:108], v0 offset:4096
	;; [unrolled: 1-line block ×3, first 2 shown]
	.loc	1 32 35                         ; matmul.py:32:35
	s_wait_dscnt 0xf
	v_wmma_f32_16x16x16_bf16 v[49:56], v[69:72], v[85:88], v[49:56]
	v_wmma_f32_16x16x16_bf16 v[33:40], v[69:72], v[81:84], v[33:40]
	s_wait_dscnt 0x9
	v_wmma_f32_16x16x16_bf16 v[17:24], v[69:72], v[97:100], v[17:24]
	v_wmma_f32_16x16x16_bf16 v[57:64], v[73:76], v[85:88], v[57:64]
	;; [unrolled: 1-line block ×6, first 2 shown]
	v_mov_b32_e32 v98, v113
	s_wait_dscnt 0x4
	v_wmma_f32_16x16x16_bf16 v[57:64], v[65:68], v[89:92], v[57:64]
	s_wait_dscnt 0x3
	v_wmma_f32_16x16x16_bf16 v[49:56], v[77:80], v[89:92], v[49:56]
	;; [unrolled: 2-line block ×3, first 2 shown]
	v_wmma_f32_16x16x16_bf16 v[33:40], v[77:80], v[101:104], v[33:40]
	s_wait_dscnt 0x1
	v_wmma_f32_16x16x16_bf16 v[25:32], v[65:68], v[105:108], v[25:32]
	v_wmma_f32_16x16x16_bf16 v[17:24], v[77:80], v[105:108], v[17:24]
	s_wait_dscnt 0x0
	v_wmma_f32_16x16x16_bf16 v[9:16], v[65:68], v[109:112], v[9:16]
	v_wmma_f32_16x16x16_bf16 v[1:8], v[77:80], v[109:112], v[1:8]
.LBB0_281:                              ; %._crit_edge._crit_edge
	.loc	1 23 51                         ; matmul.py:23:51
	scratch_load_b32 v0, off, off offset:32 th:TH_LOAD_LU ; 4-byte Folded Reload
	.loc	1 22 51                         ; matmul.py:22:51
	s_lshl_b32 s0, s12, 3
	.loc	1 23 51                         ; matmul.py:23:51
	s_wait_loadcnt 0x0
	v_lshrrev_b32_e32 v65, 1, v0
	.loc	1 22 38                         ; matmul.py:22:38
	s_wait_alu depctr_sa_sdst(0)
	v_or3_b32 v0, s0, v98, s16
	s_delay_alu instid0(VALU_DEP_2) | instskip(SKIP_1) | instid1(VALU_DEP_2)
	.loc	1 23 38                         ; matmul.py:23:38
	v_and_or_b32 v81, v65, 24, s24
	.loc	1 39 33                         ; matmul.py:39:33
	s_wait_kmcnt 0x0
	v_mul_lo_u32 v65, v0, s22
	.loc	1 40 33                         ; matmul.py:40:33
	v_cmp_gt_i32_e64 s15, s20, v0
	s_delay_alu instid0(VALU_DEP_3) | instskip(SKIP_1) | instid1(VALU_DEP_4)
	.loc	1 39 64                         ; matmul.py:39:64
	v_mul_lo_u32 v67, v81, s23
	.loc	1 40 58                         ; matmul.py:40:58
	v_cmp_gt_i32_e32 vcc_lo, s21, v81
	.loc	1 39 21                         ; matmul.py:39:21
	v_ashrrev_i32_e32 v66, 31, v65
	s_delay_alu instid0(VALU_DEP_3) | instskip(NEXT) | instid1(VALU_DEP_2)
	.loc	1 39 52 is_stmt 0               ; matmul.py:39:52
	v_ashrrev_i32_e32 v68, 31, v67
	.loc	1 39 21                         ; matmul.py:39:21
	v_lshlrev_b64_e32 v[69:70], 1, v[65:66]
	s_delay_alu instid0(VALU_DEP_2) | instskip(NEXT) | instid1(VALU_DEP_2)
	v_lshlrev_b64_e32 v[65:66], 1, v[67:68]
	v_add_co_u32 v83, s0, s18, v69
	s_wait_alu depctr_va_sdst(0)
	s_delay_alu instid0(VALU_DEP_3)
	v_add_co_ci_u32_e64 v84, null, s19, v70, s0
	.loc	1 40 39 is_stmt 1               ; matmul.py:40:39
	s_and_b32 s0, s15, vcc_lo
	.loc	1 41 21                         ; matmul.py:41:21
	s_wait_alu depctr_sa_sdst(0)
	s_and_saveexec_b32 s1, s0
	s_cbranch_execz .LBB0_283
; %bb.282:
	.loc	1 35 23                         ; matmul.py:35:23
	v_bfe_u32 v67, v57, 16, 1
	v_cmp_o_f32_e64 s0, v57, v57
	s_delay_alu instid0(VALU_DEP_2) | instskip(NEXT) | instid1(VALU_DEP_1)
	v_add3_u32 v67, v57, v67, 0x7fff
	v_lshrrev_b32_e32 v67, 16, v67
	s_wait_alu depctr_va_sdst(0)
	s_delay_alu instid0(VALU_DEP_1)
	v_cndmask_b32_e64 v57, 0x7fff, v67, s0
	.loc	1 39 52                         ; matmul.py:39:52
	v_add_co_u32 v67, s0, v83, v65
	s_wait_alu depctr_va_sdst(0)
	v_add_co_ci_u32_e64 v68, null, v84, v66, s0
	.loc	1 41 21                         ; matmul.py:41:21
	global_store_b16 v[67:68], v57, off
.LBB0_283:
	.loc	1 0 21 is_stmt 0                ; matmul.py:0:21
	s_wait_alu depctr_sa_sdst(0)
	s_or_b32 exec_lo, exec_lo, s1
	.loc	1 23 38 is_stmt 1               ; matmul.py:23:38
	v_or_b32_e32 v57, 1, v81
	s_delay_alu instid0(VALU_DEP_1) | instskip(SKIP_3) | instid1(VALU_DEP_1)
	.loc	1 39 64                         ; matmul.py:39:64
	v_mul_lo_u32 v67, s23, v57
	.loc	1 40 58                         ; matmul.py:40:58
	v_cmp_gt_i32_e64 s0, s21, v57
	.loc	1 40 39 is_stmt 0               ; matmul.py:40:39
	s_and_b32 s1, s0, s15
	.loc	1 39 52 is_stmt 1               ; matmul.py:39:52
	v_ashrrev_i32_e32 v68, 31, v67
	v_lshlrev_b64_e32 v[67:68], 1, v[67:68]
	.loc	1 41 21                         ; matmul.py:41:21
	s_wait_alu depctr_sa_sdst(0)
	s_and_saveexec_b32 s2, s1
	s_cbranch_execz .LBB0_285
; %bb.284:
	.loc	1 35 23                         ; matmul.py:35:23
	v_bfe_u32 v57, v58, 16, 1
	v_cmp_o_f32_e64 s1, v58, v58
	s_delay_alu instid0(VALU_DEP_2) | instskip(NEXT) | instid1(VALU_DEP_1)
	v_add3_u32 v57, v58, v57, 0x7fff
	v_lshrrev_b32_e32 v57, 16, v57
	s_wait_alu depctr_va_sdst(0)
	s_delay_alu instid0(VALU_DEP_1)
	v_cndmask_b32_e64 v69, 0x7fff, v57, s1
	.loc	1 39 52                         ; matmul.py:39:52
	v_add_co_u32 v57, s1, v83, v67
	s_wait_alu depctr_va_sdst(0)
	v_add_co_ci_u32_e64 v58, null, v84, v68, s1
	.loc	1 41 21                         ; matmul.py:41:21
	global_store_b16 v[57:58], v69, off
.LBB0_285:
	.loc	1 0 21 is_stmt 0                ; matmul.py:0:21
	s_wait_alu depctr_sa_sdst(0)
	s_or_b32 exec_lo, exec_lo, s2
	.loc	1 23 38 is_stmt 1               ; matmul.py:23:38
	v_or_b32_e32 v69, 2, v81
	s_delay_alu instid0(VALU_DEP_1) | instskip(SKIP_3) | instid1(VALU_DEP_1)
	.loc	1 39 64                         ; matmul.py:39:64
	v_mul_lo_u32 v57, s23, v69
	.loc	1 40 58                         ; matmul.py:40:58
	v_cmp_gt_i32_e64 s1, s21, v69
	.loc	1 40 39 is_stmt 0               ; matmul.py:40:39
	s_and_b32 s2, s1, s15
	.loc	1 39 52 is_stmt 1               ; matmul.py:39:52
	v_ashrrev_i32_e32 v58, 31, v57
	v_lshlrev_b64_e32 v[57:58], 1, v[57:58]
	;; [unrolled: 36-line block ×9, first 2 shown]
	.loc	1 41 21                         ; matmul.py:41:21
	s_wait_alu depctr_sa_sdst(0)
	s_and_saveexec_b32 s10, s9
	s_cbranch_execz .LBB0_301
; %bb.300:
	.loc	1 35 23                         ; matmul.py:35:23
	v_bfe_u32 v49, v50, 16, 1
	v_cmp_o_f32_e64 s9, v50, v50
	s_delay_alu instid0(VALU_DEP_2) | instskip(NEXT) | instid1(VALU_DEP_1)
	v_add3_u32 v49, v50, v49, 0x7fff
	v_lshrrev_b32_e32 v49, 16, v49
	s_wait_alu depctr_va_sdst(0)
	s_delay_alu instid0(VALU_DEP_1)
	v_cndmask_b32_e64 v77, 0x7fff, v49, s9
	.loc	1 39 52                         ; matmul.py:39:52
	v_add_co_u32 v49, s9, v83, v75
	s_wait_alu depctr_va_sdst(0)
	v_add_co_ci_u32_e64 v50, null, v84, v76, s9
	.loc	1 41 21                         ; matmul.py:41:21
	global_store_b16 v[49:50], v77, off
.LBB0_301:
	.loc	1 0 21 is_stmt 0                ; matmul.py:0:21
	s_or_b32 exec_lo, exec_lo, s10
	.loc	1 23 38 is_stmt 1               ; matmul.py:23:38
	v_or_b32_e32 v77, 34, v81
	s_delay_alu instid0(VALU_DEP_1) | instskip(SKIP_3) | instid1(VALU_DEP_1)
	.loc	1 39 64                         ; matmul.py:39:64
	v_mul_lo_u32 v49, s23, v77
	.loc	1 40 58                         ; matmul.py:40:58
	v_cmp_gt_i32_e64 s9, s21, v77
	.loc	1 40 39 is_stmt 0               ; matmul.py:40:39
	s_and_b32 s10, s9, s15
	.loc	1 39 52 is_stmt 1               ; matmul.py:39:52
	v_ashrrev_i32_e32 v50, 31, v49
	v_lshlrev_b64_e32 v[49:50], 1, v[49:50]
	.loc	1 41 21                         ; matmul.py:41:21
	s_and_saveexec_b32 s11, s10
	s_cbranch_execz .LBB0_303
; %bb.302:
	.loc	1 35 23                         ; matmul.py:35:23
	v_bfe_u32 v77, v51, 16, 1
	v_cmp_o_f32_e64 s10, v51, v51
	s_delay_alu instid0(VALU_DEP_2) | instskip(NEXT) | instid1(VALU_DEP_1)
	v_add3_u32 v77, v51, v77, 0x7fff
	v_lshrrev_b32_e32 v77, 16, v77
	s_delay_alu instid0(VALU_DEP_1)
	v_cndmask_b32_e64 v51, 0x7fff, v77, s10
	.loc	1 39 52                         ; matmul.py:39:52
	v_add_co_u32 v77, s10, v83, v49
	s_wait_alu depctr_va_sdst(0)
	v_add_co_ci_u32_e64 v78, null, v84, v50, s10
	.loc	1 41 21                         ; matmul.py:41:21
	global_store_b16 v[77:78], v51, off
.LBB0_303:
	.loc	1 0 21 is_stmt 0                ; matmul.py:0:21
	s_or_b32 exec_lo, exec_lo, s11
	.loc	1 23 38 is_stmt 1               ; matmul.py:23:38
	v_or_b32_e32 v51, 35, v81
	s_delay_alu instid0(VALU_DEP_1) | instskip(SKIP_3) | instid1(VALU_DEP_1)
	.loc	1 39 64                         ; matmul.py:39:64
	v_mul_lo_u32 v77, s23, v51
	.loc	1 40 58                         ; matmul.py:40:58
	v_cmp_gt_i32_e64 s10, s21, v51
	.loc	1 40 39 is_stmt 0               ; matmul.py:40:39
	s_and_b32 s11, s10, s15
	.loc	1 39 52 is_stmt 1               ; matmul.py:39:52
	v_ashrrev_i32_e32 v78, 31, v77
	v_lshlrev_b64_e32 v[77:78], 1, v[77:78]
	.loc	1 41 21                         ; matmul.py:41:21
	s_wait_alu depctr_sa_sdst(0)
	s_and_saveexec_b32 s12, s11
	s_cbranch_execz .LBB0_305
; %bb.304:
	.loc	1 35 23                         ; matmul.py:35:23
	v_bfe_u32 v51, v52, 16, 1
	v_cmp_o_f32_e64 s11, v52, v52
	s_delay_alu instid0(VALU_DEP_2) | instskip(NEXT) | instid1(VALU_DEP_1)
	v_add3_u32 v51, v52, v51, 0x7fff
	v_lshrrev_b32_e32 v51, 16, v51
	s_wait_alu depctr_va_sdst(0)
	s_delay_alu instid0(VALU_DEP_1)
	v_cndmask_b32_e64 v79, 0x7fff, v51, s11
	.loc	1 39 52                         ; matmul.py:39:52
	v_add_co_u32 v51, s11, v83, v77
	s_wait_alu depctr_va_sdst(0)
	v_add_co_ci_u32_e64 v52, null, v84, v78, s11
	.loc	1 41 21                         ; matmul.py:41:21
	global_store_b16 v[51:52], v79, off
.LBB0_305:
	.loc	1 0 21 is_stmt 0                ; matmul.py:0:21
	s_wait_alu depctr_sa_sdst(0)
	s_or_b32 exec_lo, exec_lo, s12
	.loc	1 23 38 is_stmt 1               ; matmul.py:23:38
	v_or_b32_e32 v79, 36, v81
	s_delay_alu instid0(VALU_DEP_1) | instskip(SKIP_3) | instid1(VALU_DEP_1)
	.loc	1 39 64                         ; matmul.py:39:64
	v_mul_lo_u32 v51, s23, v79
	.loc	1 40 58                         ; matmul.py:40:58
	v_cmp_gt_i32_e64 s11, s21, v79
	.loc	1 40 39 is_stmt 0               ; matmul.py:40:39
	s_and_b32 s12, s11, s15
	.loc	1 39 52 is_stmt 1               ; matmul.py:39:52
	v_ashrrev_i32_e32 v52, 31, v51
	v_lshlrev_b64_e32 v[51:52], 1, v[51:52]
	.loc	1 41 21                         ; matmul.py:41:21
	s_wait_alu depctr_sa_sdst(0)
	s_and_saveexec_b32 s13, s12
	s_cbranch_execz .LBB0_307
; %bb.306:
	.loc	1 35 23                         ; matmul.py:35:23
	v_bfe_u32 v79, v53, 16, 1
	v_cmp_o_f32_e64 s12, v53, v53
	s_delay_alu instid0(VALU_DEP_2) | instskip(NEXT) | instid1(VALU_DEP_1)
	v_add3_u32 v79, v53, v79, 0x7fff
	v_lshrrev_b32_e32 v79, 16, v79
	s_wait_alu depctr_va_sdst(0)
	s_delay_alu instid0(VALU_DEP_1)
	v_cndmask_b32_e64 v53, 0x7fff, v79, s12
	.loc	1 39 52                         ; matmul.py:39:52
	v_add_co_u32 v79, s12, v83, v51
	s_wait_alu depctr_va_sdst(0)
	v_add_co_ci_u32_e64 v80, null, v84, v52, s12
	.loc	1 41 21                         ; matmul.py:41:21
	global_store_b16 v[79:80], v53, off
.LBB0_307:
	.loc	1 0 21 is_stmt 0                ; matmul.py:0:21
	s_wait_alu depctr_sa_sdst(0)
	s_or_b32 exec_lo, exec_lo, s13
	.loc	1 23 38 is_stmt 1               ; matmul.py:23:38
	v_or_b32_e32 v53, 37, v81
	s_delay_alu instid0(VALU_DEP_1) | instskip(SKIP_3) | instid1(VALU_DEP_1)
	.loc	1 39 64                         ; matmul.py:39:64
	v_mul_lo_u32 v79, s23, v53
	.loc	1 40 58                         ; matmul.py:40:58
	v_cmp_gt_i32_e64 s12, s21, v53
	.loc	1 40 39 is_stmt 0               ; matmul.py:40:39
	s_and_b32 s13, s12, s15
	.loc	1 39 52 is_stmt 1               ; matmul.py:39:52
	v_ashrrev_i32_e32 v80, 31, v79
	v_lshlrev_b64_e32 v[79:80], 1, v[79:80]
	.loc	1 41 21                         ; matmul.py:41:21
	s_wait_alu depctr_sa_sdst(0)
	s_and_saveexec_b32 s14, s13
	s_cbranch_execz .LBB0_309
; %bb.308:
	.loc	1 35 23                         ; matmul.py:35:23
	v_bfe_u32 v53, v54, 16, 1
	v_cmp_o_f32_e64 s13, v54, v54
	s_delay_alu instid0(VALU_DEP_2) | instskip(NEXT) | instid1(VALU_DEP_1)
	v_add3_u32 v53, v54, v53, 0x7fff
	v_lshrrev_b32_e32 v53, 16, v53
	s_wait_alu depctr_va_sdst(0)
	s_delay_alu instid0(VALU_DEP_1)
	v_cndmask_b32_e64 v82, 0x7fff, v53, s13
	.loc	1 39 52                         ; matmul.py:39:52
	v_add_co_u32 v53, s13, v83, v79
	s_wait_alu depctr_va_sdst(0)
	v_add_co_ci_u32_e64 v54, null, v84, v80, s13
	.loc	1 41 21                         ; matmul.py:41:21
	global_store_b16 v[53:54], v82, off
.LBB0_309:
	.loc	1 0 21 is_stmt 0                ; matmul.py:0:21
	s_or_b32 exec_lo, exec_lo, s14
	.loc	1 23 38 is_stmt 1               ; matmul.py:23:38
	v_or_b32_e32 v82, 38, v81
	s_delay_alu instid0(VALU_DEP_1) | instskip(SKIP_3) | instid1(VALU_DEP_1)
	.loc	1 39 64                         ; matmul.py:39:64
	v_mul_lo_u32 v53, s23, v82
	.loc	1 40 58                         ; matmul.py:40:58
	v_cmp_gt_i32_e64 s13, s21, v82
	.loc	1 40 39 is_stmt 0               ; matmul.py:40:39
	s_and_b32 s14, s13, s15
	.loc	1 39 52 is_stmt 1               ; matmul.py:39:52
	v_ashrrev_i32_e32 v54, 31, v53
	v_lshlrev_b64_e32 v[53:54], 1, v[53:54]
	.loc	1 41 21                         ; matmul.py:41:21
	s_and_saveexec_b32 s16, s14
	s_cbranch_execz .LBB0_311
; %bb.310:
	.loc	1 35 23                         ; matmul.py:35:23
	v_bfe_u32 v82, v55, 16, 1
	v_cmp_o_f32_e64 s14, v55, v55
	s_delay_alu instid0(VALU_DEP_2) | instskip(NEXT) | instid1(VALU_DEP_1)
	v_add3_u32 v82, v55, v82, 0x7fff
	v_lshrrev_b32_e32 v82, 16, v82
	s_delay_alu instid0(VALU_DEP_1)
	v_cndmask_b32_e64 v55, 0x7fff, v82, s14
	.loc	1 39 52                         ; matmul.py:39:52
	v_add_co_u32 v85, s14, v83, v53
	s_wait_alu depctr_va_sdst(0)
	v_add_co_ci_u32_e64 v86, null, v84, v54, s14
	.loc	1 41 21                         ; matmul.py:41:21
	global_store_b16 v[85:86], v55, off
.LBB0_311:
	.loc	1 0 21 is_stmt 0                ; matmul.py:0:21
	s_wait_alu depctr_sa_sdst(0)
	s_or_b32 exec_lo, exec_lo, s16
	.loc	1 23 38 is_stmt 1               ; matmul.py:23:38
	v_or_b32_e32 v55, 39, v81
	s_delay_alu instid0(VALU_DEP_1) | instskip(SKIP_3) | instid1(VALU_DEP_1)
	.loc	1 39 64                         ; matmul.py:39:64
	v_mul_lo_u32 v81, s23, v55
	.loc	1 40 58                         ; matmul.py:40:58
	v_cmp_gt_i32_e64 s14, s21, v55
	.loc	1 40 39 is_stmt 0               ; matmul.py:40:39
	s_and_b32 s15, s14, s15
	.loc	1 39 52 is_stmt 1               ; matmul.py:39:52
	v_ashrrev_i32_e32 v82, 31, v81
	v_lshlrev_b64_e32 v[81:82], 1, v[81:82]
	.loc	1 41 21                         ; matmul.py:41:21
	s_wait_alu depctr_sa_sdst(0)
	s_and_saveexec_b32 s16, s15
	s_cbranch_execz .LBB0_313
; %bb.312:
	.loc	1 35 23                         ; matmul.py:35:23
	v_bfe_u32 v55, v56, 16, 1
	v_cmp_o_f32_e64 s15, v56, v56
	s_delay_alu instid0(VALU_DEP_2) | instskip(NEXT) | instid1(VALU_DEP_1)
	v_add3_u32 v55, v56, v55, 0x7fff
	v_lshrrev_b32_e32 v55, 16, v55
	s_wait_alu depctr_va_sdst(0)
	s_delay_alu instid0(VALU_DEP_1)
	v_cndmask_b32_e64 v85, 0x7fff, v55, s15
	.loc	1 39 52                         ; matmul.py:39:52
	v_add_co_u32 v55, s15, v83, v81
	s_wait_alu depctr_va_sdst(0)
	v_add_co_ci_u32_e64 v56, null, v84, v82, s15
	.loc	1 41 21                         ; matmul.py:41:21
	global_store_b16 v[55:56], v85, off
.LBB0_313:
	.loc	1 0 21 is_stmt 0                ; matmul.py:0:21
	s_wait_alu depctr_sa_sdst(0)
	s_or_b32 exec_lo, exec_lo, s16
	.loc	1 22 38 is_stmt 1               ; matmul.py:22:38
	v_or_b32_e32 v83, 32, v0
	s_delay_alu instid0(VALU_DEP_1) | instskip(SKIP_1) | instid1(VALU_DEP_2)
	.loc	1 39 33                         ; matmul.py:39:33
	v_mul_lo_u32 v55, s22, v83
	.loc	1 40 33                         ; matmul.py:40:33
	v_cmp_gt_i32_e64 s15, s20, v83
	.loc	1 39 21                         ; matmul.py:39:21
	v_ashrrev_i32_e32 v56, 31, v55
	s_delay_alu instid0(VALU_DEP_1) | instskip(NEXT) | instid1(VALU_DEP_1)
	v_lshlrev_b64_e32 v[55:56], 1, v[55:56]
	v_add_co_u32 v55, s16, s18, v55
	s_wait_alu depctr_va_sdst(0)
	s_delay_alu instid0(VALU_DEP_2)
	v_add_co_ci_u32_e64 v56, null, s19, v56, s16
	.loc	1 40 39                         ; matmul.py:40:39
	s_and_b32 s16, s15, vcc_lo
	.loc	1 41 21                         ; matmul.py:41:21
	s_wait_alu depctr_sa_sdst(0)
	s_and_saveexec_b32 s17, s16
	s_cbranch_execnz .LBB0_364
; %bb.314:
	.loc	1 0 21 is_stmt 0                ; matmul.py:0:21
	s_wait_alu depctr_sa_sdst(0)
	s_or_b32 exec_lo, exec_lo, s17
	.loc	1 40 39 is_stmt 1               ; matmul.py:40:39
	s_and_b32 s16, s15, s0
	.loc	1 41 21                         ; matmul.py:41:21
	s_wait_alu depctr_sa_sdst(0)
	s_and_saveexec_b32 s17, s16
	s_cbranch_execnz .LBB0_365
.LBB0_315:
	.loc	1 0 21 is_stmt 0                ; matmul.py:0:21
	s_wait_alu depctr_sa_sdst(0)
	s_or_b32 exec_lo, exec_lo, s17
	.loc	1 40 39 is_stmt 1               ; matmul.py:40:39
	s_and_b32 s16, s15, s1
	.loc	1 41 21                         ; matmul.py:41:21
	s_wait_alu depctr_sa_sdst(0)
	s_and_saveexec_b32 s17, s16
	s_cbranch_execnz .LBB0_366
.LBB0_316:
	.loc	1 0 21 is_stmt 0                ; matmul.py:0:21
	s_wait_alu depctr_sa_sdst(0)
	s_or_b32 exec_lo, exec_lo, s17
	.loc	1 40 39 is_stmt 1               ; matmul.py:40:39
	s_and_b32 s16, s15, s2
	.loc	1 41 21                         ; matmul.py:41:21
	s_wait_alu depctr_sa_sdst(0)
	s_and_saveexec_b32 s17, s16
	s_cbranch_execnz .LBB0_367
.LBB0_317:
	.loc	1 0 21 is_stmt 0                ; matmul.py:0:21
	s_wait_alu depctr_sa_sdst(0)
	s_or_b32 exec_lo, exec_lo, s17
	.loc	1 40 39 is_stmt 1               ; matmul.py:40:39
	s_and_b32 s16, s15, s3
	.loc	1 41 21                         ; matmul.py:41:21
	s_wait_alu depctr_sa_sdst(0)
	s_and_saveexec_b32 s17, s16
	s_cbranch_execnz .LBB0_368
.LBB0_318:
	.loc	1 0 21 is_stmt 0                ; matmul.py:0:21
	s_wait_alu depctr_sa_sdst(0)
	s_or_b32 exec_lo, exec_lo, s17
	.loc	1 40 39 is_stmt 1               ; matmul.py:40:39
	s_and_b32 s16, s15, s4
	.loc	1 41 21                         ; matmul.py:41:21
	s_wait_alu depctr_sa_sdst(0)
	s_and_saveexec_b32 s17, s16
	s_cbranch_execnz .LBB0_369
.LBB0_319:
	.loc	1 0 21 is_stmt 0                ; matmul.py:0:21
	s_wait_alu depctr_sa_sdst(0)
	s_or_b32 exec_lo, exec_lo, s17
	.loc	1 40 39 is_stmt 1               ; matmul.py:40:39
	s_and_b32 s16, s15, s5
	.loc	1 41 21                         ; matmul.py:41:21
	s_wait_alu depctr_sa_sdst(0)
	s_and_saveexec_b32 s17, s16
	s_cbranch_execnz .LBB0_370
.LBB0_320:
	.loc	1 0 21 is_stmt 0                ; matmul.py:0:21
	s_wait_alu depctr_sa_sdst(0)
	s_or_b32 exec_lo, exec_lo, s17
	.loc	1 40 39 is_stmt 1               ; matmul.py:40:39
	s_and_b32 s16, s15, s6
	.loc	1 41 21                         ; matmul.py:41:21
	s_wait_alu depctr_sa_sdst(0)
	s_and_saveexec_b32 s17, s16
	s_cbranch_execnz .LBB0_371
.LBB0_321:
	.loc	1 0 21 is_stmt 0                ; matmul.py:0:21
	s_wait_alu depctr_sa_sdst(0)
	s_or_b32 exec_lo, exec_lo, s17
	.loc	1 40 39 is_stmt 1               ; matmul.py:40:39
	s_and_b32 s16, s15, s7
	.loc	1 41 21                         ; matmul.py:41:21
	s_wait_alu depctr_sa_sdst(0)
	s_and_saveexec_b32 s17, s16
	s_cbranch_execnz .LBB0_372
.LBB0_322:
	.loc	1 0 21 is_stmt 0                ; matmul.py:0:21
	s_wait_alu depctr_sa_sdst(0)
	s_or_b32 exec_lo, exec_lo, s17
	.loc	1 40 39 is_stmt 1               ; matmul.py:40:39
	s_and_b32 s16, s15, s8
	.loc	1 41 21                         ; matmul.py:41:21
	s_wait_alu depctr_sa_sdst(0)
	s_and_saveexec_b32 s17, s16
	s_cbranch_execnz .LBB0_373
.LBB0_323:
	.loc	1 0 21 is_stmt 0                ; matmul.py:0:21
	s_wait_alu depctr_sa_sdst(0)
	s_or_b32 exec_lo, exec_lo, s17
	.loc	1 40 39 is_stmt 1               ; matmul.py:40:39
	s_and_b32 s16, s15, s9
	.loc	1 41 21                         ; matmul.py:41:21
	s_wait_alu depctr_sa_sdst(0)
	s_and_saveexec_b32 s17, s16
	s_cbranch_execnz .LBB0_374
.LBB0_324:
	.loc	1 0 21 is_stmt 0                ; matmul.py:0:21
	s_wait_alu depctr_sa_sdst(0)
	s_or_b32 exec_lo, exec_lo, s17
	.loc	1 40 39 is_stmt 1               ; matmul.py:40:39
	s_and_b32 s16, s15, s10
	.loc	1 41 21                         ; matmul.py:41:21
	s_wait_alu depctr_sa_sdst(0)
	s_and_saveexec_b32 s17, s16
	s_cbranch_execnz .LBB0_375
.LBB0_325:
	.loc	1 0 21 is_stmt 0                ; matmul.py:0:21
	s_wait_alu depctr_sa_sdst(0)
	s_or_b32 exec_lo, exec_lo, s17
	.loc	1 40 39 is_stmt 1               ; matmul.py:40:39
	s_and_b32 s16, s15, s11
	.loc	1 41 21                         ; matmul.py:41:21
	s_wait_alu depctr_sa_sdst(0)
	s_and_saveexec_b32 s17, s16
	s_cbranch_execnz .LBB0_376
.LBB0_326:
	.loc	1 0 21 is_stmt 0                ; matmul.py:0:21
	s_wait_alu depctr_sa_sdst(0)
	s_or_b32 exec_lo, exec_lo, s17
	.loc	1 40 39 is_stmt 1               ; matmul.py:40:39
	s_and_b32 s16, s15, s12
	.loc	1 41 21                         ; matmul.py:41:21
	s_wait_alu depctr_sa_sdst(0)
	s_and_saveexec_b32 s17, s16
	s_cbranch_execnz .LBB0_377
.LBB0_327:
	.loc	1 0 21 is_stmt 0                ; matmul.py:0:21
	s_wait_alu depctr_sa_sdst(0)
	s_or_b32 exec_lo, exec_lo, s17
	.loc	1 40 39 is_stmt 1               ; matmul.py:40:39
	s_and_b32 s16, s15, s13
	.loc	1 41 21                         ; matmul.py:41:21
	s_wait_alu depctr_sa_sdst(0)
	s_and_saveexec_b32 s17, s16
	s_cbranch_execnz .LBB0_378
.LBB0_328:
	.loc	1 0 21 is_stmt 0                ; matmul.py:0:21
	s_wait_alu depctr_sa_sdst(0)
	s_or_b32 exec_lo, exec_lo, s17
	.loc	1 40 39 is_stmt 1               ; matmul.py:40:39
	s_and_b32 s15, s15, s14
	.loc	1 41 21                         ; matmul.py:41:21
	s_wait_alu depctr_sa_sdst(0)
	s_and_saveexec_b32 s16, s15
	s_cbranch_execz .LBB0_330
.LBB0_329:
	.loc	1 35 23                         ; matmul.py:35:23
	v_bfe_u32 v33, v40, 16, 1
	v_cmp_o_f32_e64 s15, v40, v40
	s_delay_alu instid0(VALU_DEP_2) | instskip(NEXT) | instid1(VALU_DEP_1)
	v_add3_u32 v33, v40, v33, 0x7fff
	v_lshrrev_b32_e32 v33, 16, v33
	s_wait_alu depctr_va_sdst(0)
	s_delay_alu instid0(VALU_DEP_1)
	v_cndmask_b32_e64 v35, 0x7fff, v33, s15
	.loc	1 39 52                         ; matmul.py:39:52
	v_add_co_u32 v33, s15, v55, v81
	s_wait_alu depctr_va_sdst(0)
	v_add_co_ci_u32_e64 v34, null, v56, v82, s15
	.loc	1 41 21                         ; matmul.py:41:21
	global_store_b16 v[33:34], v35, off
.LBB0_330:
	.loc	1 0 21 is_stmt 0                ; matmul.py:0:21
	s_wait_alu depctr_sa_sdst(0)
	s_or_b32 exec_lo, exec_lo, s16
	.loc	1 22 38 is_stmt 1               ; matmul.py:22:38
	v_or_b32_e32 v35, 64, v0
	s_delay_alu instid0(VALU_DEP_1) | instskip(SKIP_1) | instid1(VALU_DEP_2)
	.loc	1 39 33                         ; matmul.py:39:33
	v_mul_lo_u32 v33, s22, v35
	.loc	1 40 33                         ; matmul.py:40:33
	v_cmp_gt_i32_e64 s15, s20, v35
	.loc	1 39 21                         ; matmul.py:39:21
	v_ashrrev_i32_e32 v34, 31, v33
	s_delay_alu instid0(VALU_DEP_1) | instskip(NEXT) | instid1(VALU_DEP_1)
	v_lshlrev_b64_e32 v[33:34], 1, v[33:34]
	v_add_co_u32 v33, s16, s18, v33
	s_wait_alu depctr_va_sdst(0)
	s_delay_alu instid0(VALU_DEP_2)
	v_add_co_ci_u32_e64 v34, null, s19, v34, s16
	.loc	1 40 39                         ; matmul.py:40:39
	s_and_b32 s16, s15, vcc_lo
	.loc	1 41 21                         ; matmul.py:41:21
	s_wait_alu depctr_sa_sdst(0)
	s_and_saveexec_b32 s17, s16
	s_cbranch_execnz .LBB0_379
; %bb.331:
	.loc	1 0 21 is_stmt 0                ; matmul.py:0:21
	s_wait_alu depctr_sa_sdst(0)
	s_or_b32 exec_lo, exec_lo, s17
	.loc	1 40 39 is_stmt 1               ; matmul.py:40:39
	s_and_b32 s16, s15, s0
	.loc	1 41 21                         ; matmul.py:41:21
	s_wait_alu depctr_sa_sdst(0)
	s_and_saveexec_b32 s17, s16
	s_cbranch_execnz .LBB0_380
.LBB0_332:
	.loc	1 0 21 is_stmt 0                ; matmul.py:0:21
	s_wait_alu depctr_sa_sdst(0)
	s_or_b32 exec_lo, exec_lo, s17
	.loc	1 40 39 is_stmt 1               ; matmul.py:40:39
	s_and_b32 s16, s15, s1
	.loc	1 41 21                         ; matmul.py:41:21
	s_wait_alu depctr_sa_sdst(0)
	s_and_saveexec_b32 s17, s16
	s_cbranch_execnz .LBB0_381
.LBB0_333:
	.loc	1 0 21 is_stmt 0                ; matmul.py:0:21
	s_wait_alu depctr_sa_sdst(0)
	s_or_b32 exec_lo, exec_lo, s17
	.loc	1 40 39 is_stmt 1               ; matmul.py:40:39
	s_and_b32 s16, s15, s2
	.loc	1 41 21                         ; matmul.py:41:21
	s_wait_alu depctr_sa_sdst(0)
	s_and_saveexec_b32 s17, s16
	s_cbranch_execnz .LBB0_382
.LBB0_334:
	.loc	1 0 21 is_stmt 0                ; matmul.py:0:21
	s_wait_alu depctr_sa_sdst(0)
	s_or_b32 exec_lo, exec_lo, s17
	.loc	1 40 39 is_stmt 1               ; matmul.py:40:39
	s_and_b32 s16, s15, s3
	.loc	1 41 21                         ; matmul.py:41:21
	s_wait_alu depctr_sa_sdst(0)
	s_and_saveexec_b32 s17, s16
	s_cbranch_execnz .LBB0_383
.LBB0_335:
	.loc	1 0 21 is_stmt 0                ; matmul.py:0:21
	s_wait_alu depctr_sa_sdst(0)
	s_or_b32 exec_lo, exec_lo, s17
	.loc	1 40 39 is_stmt 1               ; matmul.py:40:39
	s_and_b32 s16, s15, s4
	.loc	1 41 21                         ; matmul.py:41:21
	s_wait_alu depctr_sa_sdst(0)
	s_and_saveexec_b32 s17, s16
	s_cbranch_execnz .LBB0_384
.LBB0_336:
	.loc	1 0 21 is_stmt 0                ; matmul.py:0:21
	s_wait_alu depctr_sa_sdst(0)
	s_or_b32 exec_lo, exec_lo, s17
	.loc	1 40 39 is_stmt 1               ; matmul.py:40:39
	s_and_b32 s16, s15, s5
	.loc	1 41 21                         ; matmul.py:41:21
	s_wait_alu depctr_sa_sdst(0)
	s_and_saveexec_b32 s17, s16
	s_cbranch_execnz .LBB0_385
.LBB0_337:
	.loc	1 0 21 is_stmt 0                ; matmul.py:0:21
	s_wait_alu depctr_sa_sdst(0)
	s_or_b32 exec_lo, exec_lo, s17
	.loc	1 40 39 is_stmt 1               ; matmul.py:40:39
	s_and_b32 s16, s15, s6
	.loc	1 41 21                         ; matmul.py:41:21
	s_wait_alu depctr_sa_sdst(0)
	s_and_saveexec_b32 s17, s16
	s_cbranch_execnz .LBB0_386
.LBB0_338:
	.loc	1 0 21 is_stmt 0                ; matmul.py:0:21
	s_wait_alu depctr_sa_sdst(0)
	s_or_b32 exec_lo, exec_lo, s17
	.loc	1 40 39 is_stmt 1               ; matmul.py:40:39
	s_and_b32 s16, s15, s7
	.loc	1 41 21                         ; matmul.py:41:21
	s_wait_alu depctr_sa_sdst(0)
	s_and_saveexec_b32 s17, s16
	s_cbranch_execnz .LBB0_387
.LBB0_339:
	.loc	1 0 21 is_stmt 0                ; matmul.py:0:21
	s_wait_alu depctr_sa_sdst(0)
	s_or_b32 exec_lo, exec_lo, s17
	.loc	1 40 39 is_stmt 1               ; matmul.py:40:39
	s_and_b32 s16, s15, s8
	.loc	1 41 21                         ; matmul.py:41:21
	s_wait_alu depctr_sa_sdst(0)
	s_and_saveexec_b32 s17, s16
	s_cbranch_execnz .LBB0_388
.LBB0_340:
	.loc	1 0 21 is_stmt 0                ; matmul.py:0:21
	s_wait_alu depctr_sa_sdst(0)
	s_or_b32 exec_lo, exec_lo, s17
	.loc	1 40 39 is_stmt 1               ; matmul.py:40:39
	s_and_b32 s16, s15, s9
	.loc	1 41 21                         ; matmul.py:41:21
	s_wait_alu depctr_sa_sdst(0)
	s_and_saveexec_b32 s17, s16
	s_cbranch_execnz .LBB0_389
.LBB0_341:
	.loc	1 0 21 is_stmt 0                ; matmul.py:0:21
	s_wait_alu depctr_sa_sdst(0)
	s_or_b32 exec_lo, exec_lo, s17
	.loc	1 40 39 is_stmt 1               ; matmul.py:40:39
	s_and_b32 s16, s15, s10
	.loc	1 41 21                         ; matmul.py:41:21
	s_wait_alu depctr_sa_sdst(0)
	s_and_saveexec_b32 s17, s16
	s_cbranch_execnz .LBB0_390
.LBB0_342:
	.loc	1 0 21 is_stmt 0                ; matmul.py:0:21
	s_wait_alu depctr_sa_sdst(0)
	s_or_b32 exec_lo, exec_lo, s17
	.loc	1 40 39 is_stmt 1               ; matmul.py:40:39
	s_and_b32 s16, s15, s11
	.loc	1 41 21                         ; matmul.py:41:21
	s_wait_alu depctr_sa_sdst(0)
	s_and_saveexec_b32 s17, s16
	s_cbranch_execnz .LBB0_391
.LBB0_343:
	.loc	1 0 21 is_stmt 0                ; matmul.py:0:21
	s_wait_alu depctr_sa_sdst(0)
	s_or_b32 exec_lo, exec_lo, s17
	.loc	1 40 39 is_stmt 1               ; matmul.py:40:39
	s_and_b32 s16, s15, s12
	.loc	1 41 21                         ; matmul.py:41:21
	s_wait_alu depctr_sa_sdst(0)
	s_and_saveexec_b32 s17, s16
	s_cbranch_execnz .LBB0_392
.LBB0_344:
	.loc	1 0 21 is_stmt 0                ; matmul.py:0:21
	s_wait_alu depctr_sa_sdst(0)
	s_or_b32 exec_lo, exec_lo, s17
	.loc	1 40 39 is_stmt 1               ; matmul.py:40:39
	s_and_b32 s16, s15, s13
	.loc	1 41 21                         ; matmul.py:41:21
	s_wait_alu depctr_sa_sdst(0)
	s_and_saveexec_b32 s17, s16
	s_cbranch_execnz .LBB0_393
.LBB0_345:
	.loc	1 0 21 is_stmt 0                ; matmul.py:0:21
	s_wait_alu depctr_sa_sdst(0)
	s_or_b32 exec_lo, exec_lo, s17
	.loc	1 40 39 is_stmt 1               ; matmul.py:40:39
	s_and_b32 s15, s15, s14
	.loc	1 41 21                         ; matmul.py:41:21
	s_wait_alu depctr_sa_sdst(0)
	s_and_saveexec_b32 s16, s15
	s_cbranch_execz .LBB0_347
.LBB0_346:
	.loc	1 35 23                         ; matmul.py:35:23
	v_bfe_u32 v17, v24, 16, 1
	v_cmp_o_f32_e64 s15, v24, v24
	s_delay_alu instid0(VALU_DEP_2) | instskip(NEXT) | instid1(VALU_DEP_1)
	v_add3_u32 v17, v24, v17, 0x7fff
	v_lshrrev_b32_e32 v17, 16, v17
	s_wait_alu depctr_va_sdst(0)
	s_delay_alu instid0(VALU_DEP_1)
	v_cndmask_b32_e64 v19, 0x7fff, v17, s15
	.loc	1 39 52                         ; matmul.py:39:52
	v_add_co_u32 v17, s15, v33, v81
	s_wait_alu depctr_va_sdst(0)
	v_add_co_ci_u32_e64 v18, null, v34, v82, s15
	.loc	1 41 21                         ; matmul.py:41:21
	global_store_b16 v[17:18], v19, off
.LBB0_347:
	.loc	1 0 21 is_stmt 0                ; matmul.py:0:21
	s_wait_alu depctr_sa_sdst(0)
	s_or_b32 exec_lo, exec_lo, s16
	.loc	1 22 38 is_stmt 1               ; matmul.py:22:38
	v_or_b32_e32 v0, 0x60, v0
	s_delay_alu instid0(VALU_DEP_1) | instskip(SKIP_3) | instid1(VALU_DEP_1)
	.loc	1 39 33                         ; matmul.py:39:33
	v_mul_lo_u32 v17, s22, v0
	.loc	1 40 33                         ; matmul.py:40:33
	v_cmp_gt_i32_e64 s15, s20, v0
	.loc	1 40 39 is_stmt 0               ; matmul.py:40:39
	s_and_b32 s17, s15, vcc_lo
	.loc	1 39 21 is_stmt 1               ; matmul.py:39:21
	v_ashrrev_i32_e32 v18, 31, v17
	v_lshlrev_b64_e32 v[17:18], 1, v[17:18]
	s_delay_alu instid0(VALU_DEP_1) | instskip(SKIP_1) | instid1(VALU_DEP_2)
	v_add_co_u32 v0, s16, s18, v17
	s_wait_alu depctr_va_sdst(0)
	v_add_co_ci_u32_e64 v17, null, s19, v18, s16
	.loc	1 41 21                         ; matmul.py:41:21
	s_wait_alu depctr_sa_sdst(0)
	s_and_saveexec_b32 s16, s17
	s_cbranch_execnz .LBB0_394
; %bb.348:
	.loc	1 0 21 is_stmt 0                ; matmul.py:0:21
	s_wait_alu depctr_sa_sdst(0)
	s_or_b32 exec_lo, exec_lo, s16
	.loc	1 40 39 is_stmt 1               ; matmul.py:40:39
	s_and_b32 s16, s15, s0
	.loc	1 41 21                         ; matmul.py:41:21
	s_wait_alu depctr_sa_sdst(0)
	s_and_saveexec_b32 s0, s16
	s_cbranch_execnz .LBB0_395
.LBB0_349:
	.loc	1 0 21 is_stmt 0                ; matmul.py:0:21
	s_wait_alu depctr_sa_sdst(0)
	s_or_b32 exec_lo, exec_lo, s0
	.loc	1 40 39 is_stmt 1               ; matmul.py:40:39
	s_and_b32 s1, s15, s1
	.loc	1 41 21                         ; matmul.py:41:21
	s_wait_alu depctr_sa_sdst(0)
	s_and_saveexec_b32 s0, s1
	s_cbranch_execnz .LBB0_396
.LBB0_350:
	.loc	1 0 21 is_stmt 0                ; matmul.py:0:21
	s_wait_alu depctr_sa_sdst(0)
	s_or_b32 exec_lo, exec_lo, s0
	.loc	1 40 39 is_stmt 1               ; matmul.py:40:39
	s_and_b32 s1, s15, s2
	.loc	1 41 21                         ; matmul.py:41:21
	s_wait_alu depctr_sa_sdst(0)
	s_and_saveexec_b32 s0, s1
	s_cbranch_execnz .LBB0_397
.LBB0_351:
	.loc	1 0 21 is_stmt 0                ; matmul.py:0:21
	s_wait_alu depctr_sa_sdst(0)
	s_or_b32 exec_lo, exec_lo, s0
	.loc	1 40 39 is_stmt 1               ; matmul.py:40:39
	s_and_b32 s1, s15, s3
	.loc	1 41 21                         ; matmul.py:41:21
	s_wait_alu depctr_sa_sdst(0)
	s_and_saveexec_b32 s0, s1
	s_cbranch_execnz .LBB0_398
.LBB0_352:
	.loc	1 0 21 is_stmt 0                ; matmul.py:0:21
	s_wait_alu depctr_sa_sdst(0)
	s_or_b32 exec_lo, exec_lo, s0
	.loc	1 40 39 is_stmt 1               ; matmul.py:40:39
	s_and_b32 s1, s15, s4
	.loc	1 41 21                         ; matmul.py:41:21
	s_wait_alu depctr_sa_sdst(0)
	s_and_saveexec_b32 s0, s1
	s_cbranch_execnz .LBB0_399
.LBB0_353:
	.loc	1 0 21 is_stmt 0                ; matmul.py:0:21
	s_wait_alu depctr_sa_sdst(0)
	s_or_b32 exec_lo, exec_lo, s0
	.loc	1 40 39 is_stmt 1               ; matmul.py:40:39
	s_and_b32 s1, s15, s5
	.loc	1 41 21                         ; matmul.py:41:21
	s_wait_alu depctr_sa_sdst(0)
	s_and_saveexec_b32 s0, s1
	s_cbranch_execnz .LBB0_400
.LBB0_354:
	.loc	1 0 21 is_stmt 0                ; matmul.py:0:21
	s_wait_alu depctr_sa_sdst(0)
	s_or_b32 exec_lo, exec_lo, s0
	.loc	1 40 39 is_stmt 1               ; matmul.py:40:39
	s_and_b32 s1, s15, s6
	.loc	1 41 21                         ; matmul.py:41:21
	s_wait_alu depctr_sa_sdst(0)
	s_and_saveexec_b32 s0, s1
	s_cbranch_execnz .LBB0_401
.LBB0_355:
	.loc	1 0 21 is_stmt 0                ; matmul.py:0:21
	s_wait_alu depctr_sa_sdst(0)
	s_or_b32 exec_lo, exec_lo, s0
	.loc	1 40 39 is_stmt 1               ; matmul.py:40:39
	s_and_b32 s1, s15, s7
	.loc	1 41 21                         ; matmul.py:41:21
	s_wait_alu depctr_sa_sdst(0)
	s_and_saveexec_b32 s0, s1
	s_cbranch_execnz .LBB0_402
.LBB0_356:
	.loc	1 0 21 is_stmt 0                ; matmul.py:0:21
	s_wait_alu depctr_sa_sdst(0)
	s_or_b32 exec_lo, exec_lo, s0
	.loc	1 40 39 is_stmt 1               ; matmul.py:40:39
	s_and_b32 s1, s15, s8
	.loc	1 41 21                         ; matmul.py:41:21
	s_wait_alu depctr_sa_sdst(0)
	s_and_saveexec_b32 s0, s1
	s_cbranch_execnz .LBB0_403
.LBB0_357:
	.loc	1 0 21 is_stmt 0                ; matmul.py:0:21
	s_wait_alu depctr_sa_sdst(0)
	s_or_b32 exec_lo, exec_lo, s0
	.loc	1 40 39 is_stmt 1               ; matmul.py:40:39
	s_and_b32 s1, s15, s9
	.loc	1 41 21                         ; matmul.py:41:21
	s_wait_alu depctr_sa_sdst(0)
	s_and_saveexec_b32 s0, s1
	s_cbranch_execnz .LBB0_404
.LBB0_358:
	.loc	1 0 21 is_stmt 0                ; matmul.py:0:21
	s_wait_alu depctr_sa_sdst(0)
	s_or_b32 exec_lo, exec_lo, s0
	.loc	1 40 39 is_stmt 1               ; matmul.py:40:39
	s_and_b32 s1, s15, s10
	.loc	1 41 21                         ; matmul.py:41:21
	s_wait_alu depctr_sa_sdst(0)
	s_and_saveexec_b32 s0, s1
	s_cbranch_execnz .LBB0_405
.LBB0_359:
	.loc	1 0 21 is_stmt 0                ; matmul.py:0:21
	s_wait_alu depctr_sa_sdst(0)
	s_or_b32 exec_lo, exec_lo, s0
	.loc	1 40 39 is_stmt 1               ; matmul.py:40:39
	s_and_b32 s1, s15, s11
	.loc	1 41 21                         ; matmul.py:41:21
	s_wait_alu depctr_sa_sdst(0)
	s_and_saveexec_b32 s0, s1
	s_cbranch_execnz .LBB0_406
.LBB0_360:
	.loc	1 0 21 is_stmt 0                ; matmul.py:0:21
	s_wait_alu depctr_sa_sdst(0)
	s_or_b32 exec_lo, exec_lo, s0
	.loc	1 40 39 is_stmt 1               ; matmul.py:40:39
	s_and_b32 s1, s15, s12
	.loc	1 41 21                         ; matmul.py:41:21
	s_wait_alu depctr_sa_sdst(0)
	s_and_saveexec_b32 s0, s1
	s_cbranch_execnz .LBB0_407
.LBB0_361:
	.loc	1 0 21 is_stmt 0                ; matmul.py:0:21
	s_wait_alu depctr_sa_sdst(0)
	s_or_b32 exec_lo, exec_lo, s0
	.loc	1 40 39 is_stmt 1               ; matmul.py:40:39
	s_and_b32 s1, s15, s13
	.loc	1 41 21                         ; matmul.py:41:21
	s_wait_alu depctr_sa_sdst(0)
	s_and_saveexec_b32 s0, s1
	s_cbranch_execnz .LBB0_408
.LBB0_362:
	.loc	1 0 21 is_stmt 0                ; matmul.py:0:21
	s_wait_alu depctr_sa_sdst(0)
	s_or_b32 exec_lo, exec_lo, s0
	.loc	1 40 39 is_stmt 1               ; matmul.py:40:39
	s_and_b32 s0, s15, s14
	.loc	1 41 21                         ; matmul.py:41:21
	s_wait_alu depctr_sa_sdst(0)
	s_and_saveexec_b32 s1, s0
	s_cbranch_execnz .LBB0_409
.LBB0_363:
	.loc	1 41 4 is_stmt 0                ; matmul.py:41:4
	s_nop 0
	s_sendmsg sendmsg(MSG_DEALLOC_VGPRS)
	s_endpgm
.LBB0_364:
	.loc	1 35 23 is_stmt 1               ; matmul.py:35:23
	v_bfe_u32 v83, v41, 16, 1
	v_cmp_o_f32_e64 s16, v41, v41
	s_delay_alu instid0(VALU_DEP_2) | instskip(NEXT) | instid1(VALU_DEP_1)
	v_add3_u32 v83, v41, v83, 0x7fff
	v_lshrrev_b32_e32 v83, 16, v83
	s_wait_alu depctr_va_sdst(0)
	s_delay_alu instid0(VALU_DEP_1)
	v_cndmask_b32_e64 v41, 0x7fff, v83, s16
	.loc	1 39 52                         ; matmul.py:39:52
	v_add_co_u32 v83, s16, v55, v65
	s_wait_alu depctr_va_sdst(0)
	v_add_co_ci_u32_e64 v84, null, v56, v66, s16
	.loc	1 41 21                         ; matmul.py:41:21
	global_store_b16 v[83:84], v41, off
	s_wait_alu depctr_sa_sdst(0)
	s_or_b32 exec_lo, exec_lo, s17
	.loc	1 40 39                         ; matmul.py:40:39
	s_and_b32 s16, s15, s0
	.loc	1 41 21                         ; matmul.py:41:21
	s_wait_alu depctr_sa_sdst(0)
	s_and_saveexec_b32 s17, s16
	s_cbranch_execz .LBB0_315
.LBB0_365:
	.loc	1 35 23                         ; matmul.py:35:23
	v_bfe_u32 v41, v42, 16, 1
	v_cmp_o_f32_e64 s16, v42, v42
	s_delay_alu instid0(VALU_DEP_2) | instskip(NEXT) | instid1(VALU_DEP_1)
	v_add3_u32 v41, v42, v41, 0x7fff
	v_lshrrev_b32_e32 v41, 16, v41
	s_wait_alu depctr_va_sdst(0)
	s_delay_alu instid0(VALU_DEP_1)
	v_cndmask_b32_e64 v83, 0x7fff, v41, s16
	.loc	1 39 52                         ; matmul.py:39:52
	v_add_co_u32 v41, s16, v55, v67
	s_wait_alu depctr_va_sdst(0)
	v_add_co_ci_u32_e64 v42, null, v56, v68, s16
	.loc	1 41 21                         ; matmul.py:41:21
	global_store_b16 v[41:42], v83, off
	s_wait_alu depctr_sa_sdst(0)
	s_or_b32 exec_lo, exec_lo, s17
	.loc	1 40 39                         ; matmul.py:40:39
	s_and_b32 s16, s15, s1
	.loc	1 41 21                         ; matmul.py:41:21
	s_wait_alu depctr_sa_sdst(0)
	s_and_saveexec_b32 s17, s16
	s_cbranch_execz .LBB0_316
.LBB0_366:
	.loc	1 35 23                         ; matmul.py:35:23
	v_bfe_u32 v41, v43, 16, 1
	v_cmp_o_f32_e64 s16, v43, v43
	s_delay_alu instid0(VALU_DEP_2) | instskip(NEXT) | instid1(VALU_DEP_1)
	v_add3_u32 v41, v43, v41, 0x7fff
	v_lshrrev_b32_e32 v41, 16, v41
	s_wait_alu depctr_va_sdst(0)
	s_delay_alu instid0(VALU_DEP_1)
	v_cndmask_b32_e64 v43, 0x7fff, v41, s16
	.loc	1 39 52                         ; matmul.py:39:52
	v_add_co_u32 v41, s16, v55, v57
	s_wait_alu depctr_va_sdst(0)
	v_add_co_ci_u32_e64 v42, null, v56, v58, s16
	.loc	1 41 21                         ; matmul.py:41:21
	global_store_b16 v[41:42], v43, off
	s_wait_alu depctr_sa_sdst(0)
	s_or_b32 exec_lo, exec_lo, s17
	.loc	1 40 39                         ; matmul.py:40:39
	s_and_b32 s16, s15, s2
	.loc	1 41 21                         ; matmul.py:41:21
	s_wait_alu depctr_sa_sdst(0)
	s_and_saveexec_b32 s17, s16
	s_cbranch_execz .LBB0_317
.LBB0_367:
	.loc	1 35 23                         ; matmul.py:35:23
	v_bfe_u32 v41, v44, 16, 1
	v_cmp_o_f32_e64 s16, v44, v44
	s_delay_alu instid0(VALU_DEP_2) | instskip(NEXT) | instid1(VALU_DEP_1)
	v_add3_u32 v41, v44, v41, 0x7fff
	v_lshrrev_b32_e32 v41, 16, v41
	s_wait_alu depctr_va_sdst(0)
	s_delay_alu instid0(VALU_DEP_1)
	v_cndmask_b32_e64 v43, 0x7fff, v41, s16
	.loc	1 39 52                         ; matmul.py:39:52
	v_add_co_u32 v41, s16, v55, v69
	s_wait_alu depctr_va_sdst(0)
	v_add_co_ci_u32_e64 v42, null, v56, v70, s16
	.loc	1 41 21                         ; matmul.py:41:21
	global_store_b16 v[41:42], v43, off
	s_wait_alu depctr_sa_sdst(0)
	s_or_b32 exec_lo, exec_lo, s17
	.loc	1 40 39                         ; matmul.py:40:39
	s_and_b32 s16, s15, s3
	.loc	1 41 21                         ; matmul.py:41:21
	s_wait_alu depctr_sa_sdst(0)
	s_and_saveexec_b32 s17, s16
	s_cbranch_execz .LBB0_318
.LBB0_368:
	.loc	1 35 23                         ; matmul.py:35:23
	v_bfe_u32 v41, v45, 16, 1
	v_cmp_o_f32_e64 s16, v45, v45
	s_delay_alu instid0(VALU_DEP_2) | instskip(NEXT) | instid1(VALU_DEP_1)
	v_add3_u32 v41, v45, v41, 0x7fff
	v_lshrrev_b32_e32 v41, 16, v41
	s_wait_alu depctr_va_sdst(0)
	s_delay_alu instid0(VALU_DEP_1)
	v_cndmask_b32_e64 v43, 0x7fff, v41, s16
	.loc	1 39 52                         ; matmul.py:39:52
	v_add_co_u32 v41, s16, v55, v59
	s_wait_alu depctr_va_sdst(0)
	v_add_co_ci_u32_e64 v42, null, v56, v60, s16
	.loc	1 41 21                         ; matmul.py:41:21
	global_store_b16 v[41:42], v43, off
	s_wait_alu depctr_sa_sdst(0)
	s_or_b32 exec_lo, exec_lo, s17
	.loc	1 40 39                         ; matmul.py:40:39
	s_and_b32 s16, s15, s4
	.loc	1 41 21                         ; matmul.py:41:21
	s_wait_alu depctr_sa_sdst(0)
	s_and_saveexec_b32 s17, s16
	s_cbranch_execz .LBB0_319
.LBB0_369:
	.loc	1 35 23                         ; matmul.py:35:23
	v_bfe_u32 v41, v46, 16, 1
	v_cmp_o_f32_e64 s16, v46, v46
	s_delay_alu instid0(VALU_DEP_2) | instskip(NEXT) | instid1(VALU_DEP_1)
	v_add3_u32 v41, v46, v41, 0x7fff
	v_lshrrev_b32_e32 v41, 16, v41
	s_wait_alu depctr_va_sdst(0)
	s_delay_alu instid0(VALU_DEP_1)
	v_cndmask_b32_e64 v43, 0x7fff, v41, s16
	.loc	1 39 52                         ; matmul.py:39:52
	v_add_co_u32 v41, s16, v55, v71
	s_wait_alu depctr_va_sdst(0)
	v_add_co_ci_u32_e64 v42, null, v56, v72, s16
	.loc	1 41 21                         ; matmul.py:41:21
	global_store_b16 v[41:42], v43, off
	s_wait_alu depctr_sa_sdst(0)
	s_or_b32 exec_lo, exec_lo, s17
	.loc	1 40 39                         ; matmul.py:40:39
	s_and_b32 s16, s15, s5
	.loc	1 41 21                         ; matmul.py:41:21
	s_wait_alu depctr_sa_sdst(0)
	s_and_saveexec_b32 s17, s16
	s_cbranch_execz .LBB0_320
.LBB0_370:
	.loc	1 35 23                         ; matmul.py:35:23
	v_bfe_u32 v41, v47, 16, 1
	v_cmp_o_f32_e64 s16, v47, v47
	s_delay_alu instid0(VALU_DEP_2) | instskip(NEXT) | instid1(VALU_DEP_1)
	v_add3_u32 v41, v47, v41, 0x7fff
	v_lshrrev_b32_e32 v41, 16, v41
	s_wait_alu depctr_va_sdst(0)
	s_delay_alu instid0(VALU_DEP_1)
	v_cndmask_b32_e64 v43, 0x7fff, v41, s16
	.loc	1 39 52                         ; matmul.py:39:52
	v_add_co_u32 v41, s16, v55, v61
	s_wait_alu depctr_va_sdst(0)
	v_add_co_ci_u32_e64 v42, null, v56, v62, s16
	.loc	1 41 21                         ; matmul.py:41:21
	global_store_b16 v[41:42], v43, off
	s_wait_alu depctr_sa_sdst(0)
	s_or_b32 exec_lo, exec_lo, s17
	.loc	1 40 39                         ; matmul.py:40:39
	s_and_b32 s16, s15, s6
	.loc	1 41 21                         ; matmul.py:41:21
	s_wait_alu depctr_sa_sdst(0)
	s_and_saveexec_b32 s17, s16
	s_cbranch_execz .LBB0_321
.LBB0_371:
	.loc	1 35 23                         ; matmul.py:35:23
	v_bfe_u32 v41, v48, 16, 1
	v_cmp_o_f32_e64 s16, v48, v48
	s_delay_alu instid0(VALU_DEP_2) | instskip(NEXT) | instid1(VALU_DEP_1)
	v_add3_u32 v41, v48, v41, 0x7fff
	v_lshrrev_b32_e32 v41, 16, v41
	s_wait_alu depctr_va_sdst(0)
	s_delay_alu instid0(VALU_DEP_1)
	v_cndmask_b32_e64 v43, 0x7fff, v41, s16
	.loc	1 39 52                         ; matmul.py:39:52
	v_add_co_u32 v41, s16, v55, v73
	s_wait_alu depctr_va_sdst(0)
	v_add_co_ci_u32_e64 v42, null, v56, v74, s16
	.loc	1 41 21                         ; matmul.py:41:21
	global_store_b16 v[41:42], v43, off
	s_wait_alu depctr_sa_sdst(0)
	s_or_b32 exec_lo, exec_lo, s17
	.loc	1 40 39                         ; matmul.py:40:39
	s_and_b32 s16, s15, s7
	.loc	1 41 21                         ; matmul.py:41:21
	s_wait_alu depctr_sa_sdst(0)
	s_and_saveexec_b32 s17, s16
	s_cbranch_execz .LBB0_322
.LBB0_372:
	.loc	1 35 23                         ; matmul.py:35:23
	v_bfe_u32 v41, v33, 16, 1
	v_cmp_o_f32_e64 s16, v33, v33
	s_delay_alu instid0(VALU_DEP_2) | instskip(NEXT) | instid1(VALU_DEP_1)
	v_add3_u32 v41, v33, v41, 0x7fff
	v_lshrrev_b32_e32 v41, 16, v41
	s_wait_alu depctr_va_sdst(0)
	s_delay_alu instid0(VALU_DEP_1)
	v_cndmask_b32_e64 v33, 0x7fff, v41, s16
	.loc	1 39 52                         ; matmul.py:39:52
	v_add_co_u32 v41, s16, v55, v63
	s_wait_alu depctr_va_sdst(0)
	v_add_co_ci_u32_e64 v42, null, v56, v64, s16
	.loc	1 41 21                         ; matmul.py:41:21
	global_store_b16 v[41:42], v33, off
	s_wait_alu depctr_sa_sdst(0)
	s_or_b32 exec_lo, exec_lo, s17
	.loc	1 40 39                         ; matmul.py:40:39
	s_and_b32 s16, s15, s8
	.loc	1 41 21                         ; matmul.py:41:21
	s_wait_alu depctr_sa_sdst(0)
	s_and_saveexec_b32 s17, s16
	s_cbranch_execz .LBB0_323
.LBB0_373:
	.loc	1 35 23                         ; matmul.py:35:23
	v_bfe_u32 v33, v34, 16, 1
	v_cmp_o_f32_e64 s16, v34, v34
	s_delay_alu instid0(VALU_DEP_2) | instskip(NEXT) | instid1(VALU_DEP_1)
	v_add3_u32 v33, v34, v33, 0x7fff
	v_lshrrev_b32_e32 v33, 16, v33
	s_wait_alu depctr_va_sdst(0)
	s_delay_alu instid0(VALU_DEP_1)
	v_cndmask_b32_e64 v41, 0x7fff, v33, s16
	.loc	1 39 52                         ; matmul.py:39:52
	v_add_co_u32 v33, s16, v55, v75
	s_wait_alu depctr_va_sdst(0)
	v_add_co_ci_u32_e64 v34, null, v56, v76, s16
	.loc	1 41 21                         ; matmul.py:41:21
	global_store_b16 v[33:34], v41, off
	s_wait_alu depctr_sa_sdst(0)
	s_or_b32 exec_lo, exec_lo, s17
	.loc	1 40 39                         ; matmul.py:40:39
	s_and_b32 s16, s15, s9
	.loc	1 41 21                         ; matmul.py:41:21
	s_wait_alu depctr_sa_sdst(0)
	s_and_saveexec_b32 s17, s16
	s_cbranch_execz .LBB0_324
.LBB0_374:
	.loc	1 35 23                         ; matmul.py:35:23
	v_bfe_u32 v33, v35, 16, 1
	v_cmp_o_f32_e64 s16, v35, v35
	s_delay_alu instid0(VALU_DEP_2) | instskip(NEXT) | instid1(VALU_DEP_1)
	v_add3_u32 v33, v35, v33, 0x7fff
	v_lshrrev_b32_e32 v33, 16, v33
	s_wait_alu depctr_va_sdst(0)
	s_delay_alu instid0(VALU_DEP_1)
	v_cndmask_b32_e64 v35, 0x7fff, v33, s16
	.loc	1 39 52                         ; matmul.py:39:52
	v_add_co_u32 v33, s16, v55, v49
	s_wait_alu depctr_va_sdst(0)
	v_add_co_ci_u32_e64 v34, null, v56, v50, s16
	.loc	1 41 21                         ; matmul.py:41:21
	global_store_b16 v[33:34], v35, off
	s_wait_alu depctr_sa_sdst(0)
	s_or_b32 exec_lo, exec_lo, s17
	.loc	1 40 39                         ; matmul.py:40:39
	s_and_b32 s16, s15, s10
	.loc	1 41 21                         ; matmul.py:41:21
	s_wait_alu depctr_sa_sdst(0)
	s_and_saveexec_b32 s17, s16
	s_cbranch_execz .LBB0_325
.LBB0_375:
	.loc	1 35 23                         ; matmul.py:35:23
	v_bfe_u32 v33, v36, 16, 1
	v_cmp_o_f32_e64 s16, v36, v36
	s_delay_alu instid0(VALU_DEP_2) | instskip(NEXT) | instid1(VALU_DEP_1)
	v_add3_u32 v33, v36, v33, 0x7fff
	v_lshrrev_b32_e32 v33, 16, v33
	s_wait_alu depctr_va_sdst(0)
	s_delay_alu instid0(VALU_DEP_1)
	v_cndmask_b32_e64 v35, 0x7fff, v33, s16
	.loc	1 39 52                         ; matmul.py:39:52
	v_add_co_u32 v33, s16, v55, v77
	s_wait_alu depctr_va_sdst(0)
	v_add_co_ci_u32_e64 v34, null, v56, v78, s16
	.loc	1 41 21                         ; matmul.py:41:21
	global_store_b16 v[33:34], v35, off
	s_wait_alu depctr_sa_sdst(0)
	s_or_b32 exec_lo, exec_lo, s17
	.loc	1 40 39                         ; matmul.py:40:39
	s_and_b32 s16, s15, s11
	.loc	1 41 21                         ; matmul.py:41:21
	s_wait_alu depctr_sa_sdst(0)
	s_and_saveexec_b32 s17, s16
	s_cbranch_execz .LBB0_326
.LBB0_376:
	.loc	1 35 23                         ; matmul.py:35:23
	v_bfe_u32 v33, v37, 16, 1
	v_cmp_o_f32_e64 s16, v37, v37
	s_delay_alu instid0(VALU_DEP_2) | instskip(NEXT) | instid1(VALU_DEP_1)
	v_add3_u32 v33, v37, v33, 0x7fff
	v_lshrrev_b32_e32 v33, 16, v33
	s_wait_alu depctr_va_sdst(0)
	s_delay_alu instid0(VALU_DEP_1)
	v_cndmask_b32_e64 v35, 0x7fff, v33, s16
	.loc	1 39 52                         ; matmul.py:39:52
	v_add_co_u32 v33, s16, v55, v51
	s_wait_alu depctr_va_sdst(0)
	v_add_co_ci_u32_e64 v34, null, v56, v52, s16
	.loc	1 41 21                         ; matmul.py:41:21
	global_store_b16 v[33:34], v35, off
	s_wait_alu depctr_sa_sdst(0)
	s_or_b32 exec_lo, exec_lo, s17
	.loc	1 40 39                         ; matmul.py:40:39
	s_and_b32 s16, s15, s12
	.loc	1 41 21                         ; matmul.py:41:21
	s_wait_alu depctr_sa_sdst(0)
	s_and_saveexec_b32 s17, s16
	s_cbranch_execz .LBB0_327
.LBB0_377:
	.loc	1 35 23                         ; matmul.py:35:23
	v_bfe_u32 v33, v38, 16, 1
	v_cmp_o_f32_e64 s16, v38, v38
	s_delay_alu instid0(VALU_DEP_2) | instskip(NEXT) | instid1(VALU_DEP_1)
	v_add3_u32 v33, v38, v33, 0x7fff
	v_lshrrev_b32_e32 v33, 16, v33
	s_wait_alu depctr_va_sdst(0)
	s_delay_alu instid0(VALU_DEP_1)
	v_cndmask_b32_e64 v35, 0x7fff, v33, s16
	.loc	1 39 52                         ; matmul.py:39:52
	v_add_co_u32 v33, s16, v55, v79
	s_wait_alu depctr_va_sdst(0)
	v_add_co_ci_u32_e64 v34, null, v56, v80, s16
	.loc	1 41 21                         ; matmul.py:41:21
	global_store_b16 v[33:34], v35, off
	s_wait_alu depctr_sa_sdst(0)
	s_or_b32 exec_lo, exec_lo, s17
	.loc	1 40 39                         ; matmul.py:40:39
	s_and_b32 s16, s15, s13
	.loc	1 41 21                         ; matmul.py:41:21
	s_wait_alu depctr_sa_sdst(0)
	s_and_saveexec_b32 s17, s16
	s_cbranch_execz .LBB0_328
.LBB0_378:
	.loc	1 35 23                         ; matmul.py:35:23
	v_bfe_u32 v33, v39, 16, 1
	v_cmp_o_f32_e64 s16, v39, v39
	s_delay_alu instid0(VALU_DEP_2) | instskip(NEXT) | instid1(VALU_DEP_1)
	v_add3_u32 v33, v39, v33, 0x7fff
	v_lshrrev_b32_e32 v33, 16, v33
	s_wait_alu depctr_va_sdst(0)
	s_delay_alu instid0(VALU_DEP_1)
	v_cndmask_b32_e64 v35, 0x7fff, v33, s16
	.loc	1 39 52                         ; matmul.py:39:52
	v_add_co_u32 v33, s16, v55, v53
	s_wait_alu depctr_va_sdst(0)
	v_add_co_ci_u32_e64 v34, null, v56, v54, s16
	.loc	1 41 21                         ; matmul.py:41:21
	global_store_b16 v[33:34], v35, off
	s_wait_alu depctr_sa_sdst(0)
	s_or_b32 exec_lo, exec_lo, s17
	.loc	1 40 39                         ; matmul.py:40:39
	s_and_b32 s15, s15, s14
	.loc	1 41 21                         ; matmul.py:41:21
	s_wait_alu depctr_sa_sdst(0)
	s_and_saveexec_b32 s16, s15
	s_cbranch_execnz .LBB0_329
	s_branch .LBB0_330
.LBB0_379:
	.loc	1 35 23                         ; matmul.py:35:23
	v_bfe_u32 v35, v25, 16, 1
	v_cmp_o_f32_e64 s16, v25, v25
	s_delay_alu instid0(VALU_DEP_2) | instskip(NEXT) | instid1(VALU_DEP_1)
	v_add3_u32 v35, v25, v35, 0x7fff
	v_lshrrev_b32_e32 v35, 16, v35
	s_wait_alu depctr_va_sdst(0)
	s_delay_alu instid0(VALU_DEP_1)
	v_cndmask_b32_e64 v25, 0x7fff, v35, s16
	.loc	1 39 52                         ; matmul.py:39:52
	v_add_co_u32 v35, s16, v33, v65
	s_wait_alu depctr_va_sdst(0)
	v_add_co_ci_u32_e64 v36, null, v34, v66, s16
	.loc	1 41 21                         ; matmul.py:41:21
	global_store_b16 v[35:36], v25, off
	s_wait_alu depctr_sa_sdst(0)
	s_or_b32 exec_lo, exec_lo, s17
	.loc	1 40 39                         ; matmul.py:40:39
	s_and_b32 s16, s15, s0
	.loc	1 41 21                         ; matmul.py:41:21
	s_wait_alu depctr_sa_sdst(0)
	s_and_saveexec_b32 s17, s16
	s_cbranch_execz .LBB0_332
.LBB0_380:
	.loc	1 35 23                         ; matmul.py:35:23
	v_bfe_u32 v25, v26, 16, 1
	v_cmp_o_f32_e64 s16, v26, v26
	s_delay_alu instid0(VALU_DEP_2) | instskip(NEXT) | instid1(VALU_DEP_1)
	v_add3_u32 v25, v26, v25, 0x7fff
	v_lshrrev_b32_e32 v25, 16, v25
	s_wait_alu depctr_va_sdst(0)
	s_delay_alu instid0(VALU_DEP_1)
	v_cndmask_b32_e64 v35, 0x7fff, v25, s16
	.loc	1 39 52                         ; matmul.py:39:52
	v_add_co_u32 v25, s16, v33, v67
	s_wait_alu depctr_va_sdst(0)
	v_add_co_ci_u32_e64 v26, null, v34, v68, s16
	.loc	1 41 21                         ; matmul.py:41:21
	global_store_b16 v[25:26], v35, off
	s_wait_alu depctr_sa_sdst(0)
	s_or_b32 exec_lo, exec_lo, s17
	.loc	1 40 39                         ; matmul.py:40:39
	s_and_b32 s16, s15, s1
	.loc	1 41 21                         ; matmul.py:41:21
	s_wait_alu depctr_sa_sdst(0)
	s_and_saveexec_b32 s17, s16
	s_cbranch_execz .LBB0_333
.LBB0_381:
	.loc	1 35 23                         ; matmul.py:35:23
	v_bfe_u32 v25, v27, 16, 1
	v_cmp_o_f32_e64 s16, v27, v27
	s_delay_alu instid0(VALU_DEP_2) | instskip(NEXT) | instid1(VALU_DEP_1)
	v_add3_u32 v25, v27, v25, 0x7fff
	v_lshrrev_b32_e32 v25, 16, v25
	s_wait_alu depctr_va_sdst(0)
	s_delay_alu instid0(VALU_DEP_1)
	v_cndmask_b32_e64 v27, 0x7fff, v25, s16
	.loc	1 39 52                         ; matmul.py:39:52
	v_add_co_u32 v25, s16, v33, v57
	s_wait_alu depctr_va_sdst(0)
	v_add_co_ci_u32_e64 v26, null, v34, v58, s16
	.loc	1 41 21                         ; matmul.py:41:21
	global_store_b16 v[25:26], v27, off
	s_wait_alu depctr_sa_sdst(0)
	s_or_b32 exec_lo, exec_lo, s17
	.loc	1 40 39                         ; matmul.py:40:39
	s_and_b32 s16, s15, s2
	.loc	1 41 21                         ; matmul.py:41:21
	s_wait_alu depctr_sa_sdst(0)
	s_and_saveexec_b32 s17, s16
	s_cbranch_execz .LBB0_334
.LBB0_382:
	.loc	1 35 23                         ; matmul.py:35:23
	v_bfe_u32 v25, v28, 16, 1
	v_cmp_o_f32_e64 s16, v28, v28
	s_delay_alu instid0(VALU_DEP_2) | instskip(NEXT) | instid1(VALU_DEP_1)
	v_add3_u32 v25, v28, v25, 0x7fff
	v_lshrrev_b32_e32 v25, 16, v25
	s_wait_alu depctr_va_sdst(0)
	s_delay_alu instid0(VALU_DEP_1)
	v_cndmask_b32_e64 v27, 0x7fff, v25, s16
	.loc	1 39 52                         ; matmul.py:39:52
	v_add_co_u32 v25, s16, v33, v69
	s_wait_alu depctr_va_sdst(0)
	v_add_co_ci_u32_e64 v26, null, v34, v70, s16
	.loc	1 41 21                         ; matmul.py:41:21
	global_store_b16 v[25:26], v27, off
	s_wait_alu depctr_sa_sdst(0)
	s_or_b32 exec_lo, exec_lo, s17
	.loc	1 40 39                         ; matmul.py:40:39
	s_and_b32 s16, s15, s3
	.loc	1 41 21                         ; matmul.py:41:21
	s_wait_alu depctr_sa_sdst(0)
	s_and_saveexec_b32 s17, s16
	s_cbranch_execz .LBB0_335
.LBB0_383:
	.loc	1 35 23                         ; matmul.py:35:23
	v_bfe_u32 v25, v29, 16, 1
	v_cmp_o_f32_e64 s16, v29, v29
	s_delay_alu instid0(VALU_DEP_2) | instskip(NEXT) | instid1(VALU_DEP_1)
	v_add3_u32 v25, v29, v25, 0x7fff
	v_lshrrev_b32_e32 v25, 16, v25
	s_wait_alu depctr_va_sdst(0)
	s_delay_alu instid0(VALU_DEP_1)
	v_cndmask_b32_e64 v27, 0x7fff, v25, s16
	.loc	1 39 52                         ; matmul.py:39:52
	v_add_co_u32 v25, s16, v33, v59
	s_wait_alu depctr_va_sdst(0)
	v_add_co_ci_u32_e64 v26, null, v34, v60, s16
	.loc	1 41 21                         ; matmul.py:41:21
	global_store_b16 v[25:26], v27, off
	s_wait_alu depctr_sa_sdst(0)
	s_or_b32 exec_lo, exec_lo, s17
	.loc	1 40 39                         ; matmul.py:40:39
	s_and_b32 s16, s15, s4
	.loc	1 41 21                         ; matmul.py:41:21
	s_wait_alu depctr_sa_sdst(0)
	s_and_saveexec_b32 s17, s16
	s_cbranch_execz .LBB0_336
.LBB0_384:
	.loc	1 35 23                         ; matmul.py:35:23
	v_bfe_u32 v25, v30, 16, 1
	v_cmp_o_f32_e64 s16, v30, v30
	s_delay_alu instid0(VALU_DEP_2) | instskip(NEXT) | instid1(VALU_DEP_1)
	v_add3_u32 v25, v30, v25, 0x7fff
	v_lshrrev_b32_e32 v25, 16, v25
	s_wait_alu depctr_va_sdst(0)
	s_delay_alu instid0(VALU_DEP_1)
	v_cndmask_b32_e64 v27, 0x7fff, v25, s16
	.loc	1 39 52                         ; matmul.py:39:52
	v_add_co_u32 v25, s16, v33, v71
	s_wait_alu depctr_va_sdst(0)
	v_add_co_ci_u32_e64 v26, null, v34, v72, s16
	.loc	1 41 21                         ; matmul.py:41:21
	global_store_b16 v[25:26], v27, off
	s_wait_alu depctr_sa_sdst(0)
	s_or_b32 exec_lo, exec_lo, s17
	.loc	1 40 39                         ; matmul.py:40:39
	s_and_b32 s16, s15, s5
	.loc	1 41 21                         ; matmul.py:41:21
	s_wait_alu depctr_sa_sdst(0)
	s_and_saveexec_b32 s17, s16
	s_cbranch_execz .LBB0_337
.LBB0_385:
	.loc	1 35 23                         ; matmul.py:35:23
	v_bfe_u32 v25, v31, 16, 1
	v_cmp_o_f32_e64 s16, v31, v31
	s_delay_alu instid0(VALU_DEP_2) | instskip(NEXT) | instid1(VALU_DEP_1)
	v_add3_u32 v25, v31, v25, 0x7fff
	v_lshrrev_b32_e32 v25, 16, v25
	s_wait_alu depctr_va_sdst(0)
	s_delay_alu instid0(VALU_DEP_1)
	v_cndmask_b32_e64 v27, 0x7fff, v25, s16
	.loc	1 39 52                         ; matmul.py:39:52
	v_add_co_u32 v25, s16, v33, v61
	s_wait_alu depctr_va_sdst(0)
	v_add_co_ci_u32_e64 v26, null, v34, v62, s16
	.loc	1 41 21                         ; matmul.py:41:21
	global_store_b16 v[25:26], v27, off
	s_wait_alu depctr_sa_sdst(0)
	s_or_b32 exec_lo, exec_lo, s17
	.loc	1 40 39                         ; matmul.py:40:39
	s_and_b32 s16, s15, s6
	.loc	1 41 21                         ; matmul.py:41:21
	s_wait_alu depctr_sa_sdst(0)
	s_and_saveexec_b32 s17, s16
	s_cbranch_execz .LBB0_338
.LBB0_386:
	.loc	1 35 23                         ; matmul.py:35:23
	v_bfe_u32 v25, v32, 16, 1
	v_cmp_o_f32_e64 s16, v32, v32
	s_delay_alu instid0(VALU_DEP_2) | instskip(NEXT) | instid1(VALU_DEP_1)
	v_add3_u32 v25, v32, v25, 0x7fff
	v_lshrrev_b32_e32 v25, 16, v25
	s_wait_alu depctr_va_sdst(0)
	s_delay_alu instid0(VALU_DEP_1)
	v_cndmask_b32_e64 v27, 0x7fff, v25, s16
	.loc	1 39 52                         ; matmul.py:39:52
	v_add_co_u32 v25, s16, v33, v73
	s_wait_alu depctr_va_sdst(0)
	v_add_co_ci_u32_e64 v26, null, v34, v74, s16
	.loc	1 41 21                         ; matmul.py:41:21
	global_store_b16 v[25:26], v27, off
	s_wait_alu depctr_sa_sdst(0)
	s_or_b32 exec_lo, exec_lo, s17
	.loc	1 40 39                         ; matmul.py:40:39
	s_and_b32 s16, s15, s7
	.loc	1 41 21                         ; matmul.py:41:21
	s_wait_alu depctr_sa_sdst(0)
	s_and_saveexec_b32 s17, s16
	s_cbranch_execz .LBB0_339
.LBB0_387:
	.loc	1 35 23                         ; matmul.py:35:23
	v_bfe_u32 v25, v17, 16, 1
	v_cmp_o_f32_e64 s16, v17, v17
	s_delay_alu instid0(VALU_DEP_2) | instskip(NEXT) | instid1(VALU_DEP_1)
	v_add3_u32 v25, v17, v25, 0x7fff
	v_lshrrev_b32_e32 v25, 16, v25
	s_wait_alu depctr_va_sdst(0)
	s_delay_alu instid0(VALU_DEP_1)
	v_cndmask_b32_e64 v17, 0x7fff, v25, s16
	.loc	1 39 52                         ; matmul.py:39:52
	v_add_co_u32 v25, s16, v33, v63
	s_wait_alu depctr_va_sdst(0)
	v_add_co_ci_u32_e64 v26, null, v34, v64, s16
	.loc	1 41 21                         ; matmul.py:41:21
	global_store_b16 v[25:26], v17, off
	s_wait_alu depctr_sa_sdst(0)
	s_or_b32 exec_lo, exec_lo, s17
	.loc	1 40 39                         ; matmul.py:40:39
	s_and_b32 s16, s15, s8
	.loc	1 41 21                         ; matmul.py:41:21
	s_wait_alu depctr_sa_sdst(0)
	s_and_saveexec_b32 s17, s16
	s_cbranch_execz .LBB0_340
.LBB0_388:
	.loc	1 35 23                         ; matmul.py:35:23
	v_bfe_u32 v17, v18, 16, 1
	v_cmp_o_f32_e64 s16, v18, v18
	s_delay_alu instid0(VALU_DEP_2) | instskip(NEXT) | instid1(VALU_DEP_1)
	v_add3_u32 v17, v18, v17, 0x7fff
	v_lshrrev_b32_e32 v17, 16, v17
	s_wait_alu depctr_va_sdst(0)
	s_delay_alu instid0(VALU_DEP_1)
	v_cndmask_b32_e64 v25, 0x7fff, v17, s16
	.loc	1 39 52                         ; matmul.py:39:52
	v_add_co_u32 v17, s16, v33, v75
	s_wait_alu depctr_va_sdst(0)
	v_add_co_ci_u32_e64 v18, null, v34, v76, s16
	.loc	1 41 21                         ; matmul.py:41:21
	global_store_b16 v[17:18], v25, off
	s_wait_alu depctr_sa_sdst(0)
	s_or_b32 exec_lo, exec_lo, s17
	.loc	1 40 39                         ; matmul.py:40:39
	s_and_b32 s16, s15, s9
	.loc	1 41 21                         ; matmul.py:41:21
	s_wait_alu depctr_sa_sdst(0)
	s_and_saveexec_b32 s17, s16
	s_cbranch_execz .LBB0_341
.LBB0_389:
	.loc	1 35 23                         ; matmul.py:35:23
	v_bfe_u32 v17, v19, 16, 1
	v_cmp_o_f32_e64 s16, v19, v19
	s_delay_alu instid0(VALU_DEP_2) | instskip(NEXT) | instid1(VALU_DEP_1)
	v_add3_u32 v17, v19, v17, 0x7fff
	v_lshrrev_b32_e32 v17, 16, v17
	s_wait_alu depctr_va_sdst(0)
	s_delay_alu instid0(VALU_DEP_1)
	v_cndmask_b32_e64 v19, 0x7fff, v17, s16
	.loc	1 39 52                         ; matmul.py:39:52
	v_add_co_u32 v17, s16, v33, v49
	s_wait_alu depctr_va_sdst(0)
	v_add_co_ci_u32_e64 v18, null, v34, v50, s16
	.loc	1 41 21                         ; matmul.py:41:21
	global_store_b16 v[17:18], v19, off
	s_wait_alu depctr_sa_sdst(0)
	s_or_b32 exec_lo, exec_lo, s17
	.loc	1 40 39                         ; matmul.py:40:39
	s_and_b32 s16, s15, s10
	.loc	1 41 21                         ; matmul.py:41:21
	s_wait_alu depctr_sa_sdst(0)
	s_and_saveexec_b32 s17, s16
	s_cbranch_execz .LBB0_342
.LBB0_390:
	.loc	1 35 23                         ; matmul.py:35:23
	v_bfe_u32 v17, v20, 16, 1
	v_cmp_o_f32_e64 s16, v20, v20
	s_delay_alu instid0(VALU_DEP_2) | instskip(NEXT) | instid1(VALU_DEP_1)
	v_add3_u32 v17, v20, v17, 0x7fff
	v_lshrrev_b32_e32 v17, 16, v17
	s_wait_alu depctr_va_sdst(0)
	s_delay_alu instid0(VALU_DEP_1)
	v_cndmask_b32_e64 v19, 0x7fff, v17, s16
	.loc	1 39 52                         ; matmul.py:39:52
	v_add_co_u32 v17, s16, v33, v77
	s_wait_alu depctr_va_sdst(0)
	v_add_co_ci_u32_e64 v18, null, v34, v78, s16
	.loc	1 41 21                         ; matmul.py:41:21
	global_store_b16 v[17:18], v19, off
	s_wait_alu depctr_sa_sdst(0)
	s_or_b32 exec_lo, exec_lo, s17
	.loc	1 40 39                         ; matmul.py:40:39
	s_and_b32 s16, s15, s11
	.loc	1 41 21                         ; matmul.py:41:21
	s_wait_alu depctr_sa_sdst(0)
	s_and_saveexec_b32 s17, s16
	s_cbranch_execz .LBB0_343
.LBB0_391:
	.loc	1 35 23                         ; matmul.py:35:23
	v_bfe_u32 v17, v21, 16, 1
	v_cmp_o_f32_e64 s16, v21, v21
	s_delay_alu instid0(VALU_DEP_2) | instskip(NEXT) | instid1(VALU_DEP_1)
	v_add3_u32 v17, v21, v17, 0x7fff
	v_lshrrev_b32_e32 v17, 16, v17
	s_wait_alu depctr_va_sdst(0)
	s_delay_alu instid0(VALU_DEP_1)
	v_cndmask_b32_e64 v19, 0x7fff, v17, s16
	.loc	1 39 52                         ; matmul.py:39:52
	v_add_co_u32 v17, s16, v33, v51
	s_wait_alu depctr_va_sdst(0)
	v_add_co_ci_u32_e64 v18, null, v34, v52, s16
	.loc	1 41 21                         ; matmul.py:41:21
	global_store_b16 v[17:18], v19, off
	s_wait_alu depctr_sa_sdst(0)
	s_or_b32 exec_lo, exec_lo, s17
	.loc	1 40 39                         ; matmul.py:40:39
	s_and_b32 s16, s15, s12
	.loc	1 41 21                         ; matmul.py:41:21
	s_wait_alu depctr_sa_sdst(0)
	s_and_saveexec_b32 s17, s16
	s_cbranch_execz .LBB0_344
.LBB0_392:
	.loc	1 35 23                         ; matmul.py:35:23
	v_bfe_u32 v17, v22, 16, 1
	v_cmp_o_f32_e64 s16, v22, v22
	s_delay_alu instid0(VALU_DEP_2) | instskip(NEXT) | instid1(VALU_DEP_1)
	v_add3_u32 v17, v22, v17, 0x7fff
	v_lshrrev_b32_e32 v17, 16, v17
	s_wait_alu depctr_va_sdst(0)
	s_delay_alu instid0(VALU_DEP_1)
	v_cndmask_b32_e64 v19, 0x7fff, v17, s16
	.loc	1 39 52                         ; matmul.py:39:52
	v_add_co_u32 v17, s16, v33, v79
	s_wait_alu depctr_va_sdst(0)
	v_add_co_ci_u32_e64 v18, null, v34, v80, s16
	.loc	1 41 21                         ; matmul.py:41:21
	global_store_b16 v[17:18], v19, off
	s_wait_alu depctr_sa_sdst(0)
	s_or_b32 exec_lo, exec_lo, s17
	.loc	1 40 39                         ; matmul.py:40:39
	s_and_b32 s16, s15, s13
	.loc	1 41 21                         ; matmul.py:41:21
	s_wait_alu depctr_sa_sdst(0)
	s_and_saveexec_b32 s17, s16
	s_cbranch_execz .LBB0_345
.LBB0_393:
	.loc	1 35 23                         ; matmul.py:35:23
	v_bfe_u32 v17, v23, 16, 1
	v_cmp_o_f32_e64 s16, v23, v23
	s_delay_alu instid0(VALU_DEP_2) | instskip(NEXT) | instid1(VALU_DEP_1)
	v_add3_u32 v17, v23, v17, 0x7fff
	v_lshrrev_b32_e32 v17, 16, v17
	s_wait_alu depctr_va_sdst(0)
	s_delay_alu instid0(VALU_DEP_1)
	v_cndmask_b32_e64 v19, 0x7fff, v17, s16
	.loc	1 39 52                         ; matmul.py:39:52
	v_add_co_u32 v17, s16, v33, v53
	s_wait_alu depctr_va_sdst(0)
	v_add_co_ci_u32_e64 v18, null, v34, v54, s16
	.loc	1 41 21                         ; matmul.py:41:21
	global_store_b16 v[17:18], v19, off
	s_wait_alu depctr_sa_sdst(0)
	s_or_b32 exec_lo, exec_lo, s17
	.loc	1 40 39                         ; matmul.py:40:39
	s_and_b32 s15, s15, s14
	.loc	1 41 21                         ; matmul.py:41:21
	s_wait_alu depctr_sa_sdst(0)
	s_and_saveexec_b32 s16, s15
	s_cbranch_execnz .LBB0_346
	s_branch .LBB0_347
.LBB0_394:
	.loc	1 35 23                         ; matmul.py:35:23
	v_bfe_u32 v18, v9, 16, 1
	v_cmp_o_f32_e32 vcc_lo, v9, v9
	s_delay_alu instid0(VALU_DEP_2) | instskip(NEXT) | instid1(VALU_DEP_1)
	v_add3_u32 v18, v9, v18, 0x7fff
	v_lshrrev_b32_e32 v18, 16, v18
	s_wait_alu depctr_va_vcc(0)
	s_delay_alu instid0(VALU_DEP_1)
	v_cndmask_b32_e32 v9, 0x7fff, v18, vcc_lo
	.loc	1 39 52                         ; matmul.py:39:52
	v_add_co_u32 v18, vcc_lo, v0, v65
	s_wait_alu depctr_va_vcc(0)
	v_add_co_ci_u32_e64 v19, null, v17, v66, vcc_lo
	.loc	1 41 21                         ; matmul.py:41:21
	global_store_b16 v[18:19], v9, off
	s_wait_alu depctr_sa_sdst(0)
	s_or_b32 exec_lo, exec_lo, s16
	.loc	1 40 39                         ; matmul.py:40:39
	s_and_b32 s16, s15, s0
	.loc	1 41 21                         ; matmul.py:41:21
	s_wait_alu depctr_sa_sdst(0)
	s_and_saveexec_b32 s0, s16
	s_cbranch_execz .LBB0_349
.LBB0_395:
	.loc	1 35 23                         ; matmul.py:35:23
	v_bfe_u32 v9, v10, 16, 1
	v_cmp_o_f32_e32 vcc_lo, v10, v10
	s_delay_alu instid0(VALU_DEP_2) | instskip(NEXT) | instid1(VALU_DEP_1)
	v_add3_u32 v9, v10, v9, 0x7fff
	v_lshrrev_b32_e32 v9, 16, v9
	s_wait_alu depctr_va_vcc(0)
	s_delay_alu instid0(VALU_DEP_1)
	v_cndmask_b32_e32 v18, 0x7fff, v9, vcc_lo
	.loc	1 39 52                         ; matmul.py:39:52
	v_add_co_u32 v9, vcc_lo, v0, v67
	s_wait_alu depctr_va_vcc(0)
	v_add_co_ci_u32_e64 v10, null, v17, v68, vcc_lo
	.loc	1 41 21                         ; matmul.py:41:21
	global_store_b16 v[9:10], v18, off
	s_wait_alu depctr_sa_sdst(0)
	s_or_b32 exec_lo, exec_lo, s0
	.loc	1 40 39                         ; matmul.py:40:39
	s_and_b32 s1, s15, s1
	.loc	1 41 21                         ; matmul.py:41:21
	s_wait_alu depctr_sa_sdst(0)
	s_and_saveexec_b32 s0, s1
	s_cbranch_execz .LBB0_350
.LBB0_396:
	.loc	1 35 23                         ; matmul.py:35:23
	v_bfe_u32 v9, v11, 16, 1
	v_cmp_o_f32_e32 vcc_lo, v11, v11
	s_delay_alu instid0(VALU_DEP_2) | instskip(NEXT) | instid1(VALU_DEP_1)
	v_add3_u32 v9, v11, v9, 0x7fff
	v_lshrrev_b32_e32 v9, 16, v9
	s_wait_alu depctr_va_vcc(0)
	s_delay_alu instid0(VALU_DEP_1)
	v_cndmask_b32_e32 v11, 0x7fff, v9, vcc_lo
	.loc	1 39 52                         ; matmul.py:39:52
	v_add_co_u32 v9, vcc_lo, v0, v57
	s_wait_alu depctr_va_vcc(0)
	v_add_co_ci_u32_e64 v10, null, v17, v58, vcc_lo
	.loc	1 41 21                         ; matmul.py:41:21
	global_store_b16 v[9:10], v11, off
	s_wait_alu depctr_sa_sdst(0)
	s_or_b32 exec_lo, exec_lo, s0
	.loc	1 40 39                         ; matmul.py:40:39
	s_and_b32 s1, s15, s2
	.loc	1 41 21                         ; matmul.py:41:21
	s_wait_alu depctr_sa_sdst(0)
	s_and_saveexec_b32 s0, s1
	s_cbranch_execz .LBB0_351
.LBB0_397:
	.loc	1 35 23                         ; matmul.py:35:23
	v_bfe_u32 v9, v12, 16, 1
	v_cmp_o_f32_e32 vcc_lo, v12, v12
	s_delay_alu instid0(VALU_DEP_2) | instskip(NEXT) | instid1(VALU_DEP_1)
	v_add3_u32 v9, v12, v9, 0x7fff
	v_lshrrev_b32_e32 v9, 16, v9
	s_wait_alu depctr_va_vcc(0)
	s_delay_alu instid0(VALU_DEP_1)
	v_cndmask_b32_e32 v11, 0x7fff, v9, vcc_lo
	.loc	1 39 52                         ; matmul.py:39:52
	v_add_co_u32 v9, vcc_lo, v0, v69
	s_wait_alu depctr_va_vcc(0)
	v_add_co_ci_u32_e64 v10, null, v17, v70, vcc_lo
	.loc	1 41 21                         ; matmul.py:41:21
	global_store_b16 v[9:10], v11, off
	s_wait_alu depctr_sa_sdst(0)
	s_or_b32 exec_lo, exec_lo, s0
	.loc	1 40 39                         ; matmul.py:40:39
	s_and_b32 s1, s15, s3
	.loc	1 41 21                         ; matmul.py:41:21
	s_wait_alu depctr_sa_sdst(0)
	s_and_saveexec_b32 s0, s1
	s_cbranch_execz .LBB0_352
.LBB0_398:
	.loc	1 35 23                         ; matmul.py:35:23
	v_bfe_u32 v9, v13, 16, 1
	v_cmp_o_f32_e32 vcc_lo, v13, v13
	s_delay_alu instid0(VALU_DEP_2) | instskip(NEXT) | instid1(VALU_DEP_1)
	v_add3_u32 v9, v13, v9, 0x7fff
	v_lshrrev_b32_e32 v9, 16, v9
	s_wait_alu depctr_va_vcc(0)
	s_delay_alu instid0(VALU_DEP_1)
	v_cndmask_b32_e32 v11, 0x7fff, v9, vcc_lo
	.loc	1 39 52                         ; matmul.py:39:52
	v_add_co_u32 v9, vcc_lo, v0, v59
	s_wait_alu depctr_va_vcc(0)
	v_add_co_ci_u32_e64 v10, null, v17, v60, vcc_lo
	.loc	1 41 21                         ; matmul.py:41:21
	global_store_b16 v[9:10], v11, off
	s_wait_alu depctr_sa_sdst(0)
	s_or_b32 exec_lo, exec_lo, s0
	.loc	1 40 39                         ; matmul.py:40:39
	s_and_b32 s1, s15, s4
	.loc	1 41 21                         ; matmul.py:41:21
	s_wait_alu depctr_sa_sdst(0)
	s_and_saveexec_b32 s0, s1
	s_cbranch_execz .LBB0_353
.LBB0_399:
	.loc	1 35 23                         ; matmul.py:35:23
	v_bfe_u32 v9, v14, 16, 1
	v_cmp_o_f32_e32 vcc_lo, v14, v14
	s_delay_alu instid0(VALU_DEP_2) | instskip(NEXT) | instid1(VALU_DEP_1)
	v_add3_u32 v9, v14, v9, 0x7fff
	v_lshrrev_b32_e32 v9, 16, v9
	s_wait_alu depctr_va_vcc(0)
	s_delay_alu instid0(VALU_DEP_1)
	v_cndmask_b32_e32 v11, 0x7fff, v9, vcc_lo
	.loc	1 39 52                         ; matmul.py:39:52
	v_add_co_u32 v9, vcc_lo, v0, v71
	s_wait_alu depctr_va_vcc(0)
	v_add_co_ci_u32_e64 v10, null, v17, v72, vcc_lo
	.loc	1 41 21                         ; matmul.py:41:21
	global_store_b16 v[9:10], v11, off
	s_wait_alu depctr_sa_sdst(0)
	s_or_b32 exec_lo, exec_lo, s0
	.loc	1 40 39                         ; matmul.py:40:39
	s_and_b32 s1, s15, s5
	.loc	1 41 21                         ; matmul.py:41:21
	s_wait_alu depctr_sa_sdst(0)
	s_and_saveexec_b32 s0, s1
	s_cbranch_execz .LBB0_354
.LBB0_400:
	.loc	1 35 23                         ; matmul.py:35:23
	v_bfe_u32 v9, v15, 16, 1
	v_cmp_o_f32_e32 vcc_lo, v15, v15
	s_delay_alu instid0(VALU_DEP_2) | instskip(NEXT) | instid1(VALU_DEP_1)
	v_add3_u32 v9, v15, v9, 0x7fff
	v_lshrrev_b32_e32 v9, 16, v9
	s_wait_alu depctr_va_vcc(0)
	s_delay_alu instid0(VALU_DEP_1)
	v_cndmask_b32_e32 v11, 0x7fff, v9, vcc_lo
	.loc	1 39 52                         ; matmul.py:39:52
	v_add_co_u32 v9, vcc_lo, v0, v61
	s_wait_alu depctr_va_vcc(0)
	v_add_co_ci_u32_e64 v10, null, v17, v62, vcc_lo
	.loc	1 41 21                         ; matmul.py:41:21
	global_store_b16 v[9:10], v11, off
	s_wait_alu depctr_sa_sdst(0)
	s_or_b32 exec_lo, exec_lo, s0
	.loc	1 40 39                         ; matmul.py:40:39
	s_and_b32 s1, s15, s6
	.loc	1 41 21                         ; matmul.py:41:21
	s_wait_alu depctr_sa_sdst(0)
	s_and_saveexec_b32 s0, s1
	s_cbranch_execz .LBB0_355
.LBB0_401:
	.loc	1 35 23                         ; matmul.py:35:23
	v_bfe_u32 v9, v16, 16, 1
	v_cmp_o_f32_e32 vcc_lo, v16, v16
	s_delay_alu instid0(VALU_DEP_2) | instskip(NEXT) | instid1(VALU_DEP_1)
	v_add3_u32 v9, v16, v9, 0x7fff
	v_lshrrev_b32_e32 v9, 16, v9
	s_wait_alu depctr_va_vcc(0)
	s_delay_alu instid0(VALU_DEP_1)
	v_cndmask_b32_e32 v11, 0x7fff, v9, vcc_lo
	.loc	1 39 52                         ; matmul.py:39:52
	v_add_co_u32 v9, vcc_lo, v0, v73
	s_wait_alu depctr_va_vcc(0)
	v_add_co_ci_u32_e64 v10, null, v17, v74, vcc_lo
	.loc	1 41 21                         ; matmul.py:41:21
	global_store_b16 v[9:10], v11, off
	s_wait_alu depctr_sa_sdst(0)
	s_or_b32 exec_lo, exec_lo, s0
	.loc	1 40 39                         ; matmul.py:40:39
	s_and_b32 s1, s15, s7
	.loc	1 41 21                         ; matmul.py:41:21
	s_wait_alu depctr_sa_sdst(0)
	s_and_saveexec_b32 s0, s1
	s_cbranch_execz .LBB0_356
.LBB0_402:
	.loc	1 35 23                         ; matmul.py:35:23
	v_bfe_u32 v9, v1, 16, 1
	v_cmp_o_f32_e32 vcc_lo, v1, v1
	s_delay_alu instid0(VALU_DEP_2) | instskip(NEXT) | instid1(VALU_DEP_1)
	v_add3_u32 v9, v1, v9, 0x7fff
	v_lshrrev_b32_e32 v9, 16, v9
	s_wait_alu depctr_va_vcc(0)
	s_delay_alu instid0(VALU_DEP_1)
	v_cndmask_b32_e32 v1, 0x7fff, v9, vcc_lo
	.loc	1 39 52                         ; matmul.py:39:52
	v_add_co_u32 v9, vcc_lo, v0, v63
	s_wait_alu depctr_va_vcc(0)
	v_add_co_ci_u32_e64 v10, null, v17, v64, vcc_lo
	.loc	1 41 21                         ; matmul.py:41:21
	global_store_b16 v[9:10], v1, off
	s_wait_alu depctr_sa_sdst(0)
	s_or_b32 exec_lo, exec_lo, s0
	.loc	1 40 39                         ; matmul.py:40:39
	s_and_b32 s1, s15, s8
	.loc	1 41 21                         ; matmul.py:41:21
	s_wait_alu depctr_sa_sdst(0)
	s_and_saveexec_b32 s0, s1
	s_cbranch_execz .LBB0_357
.LBB0_403:
	.loc	1 35 23                         ; matmul.py:35:23
	v_bfe_u32 v1, v2, 16, 1
	v_cmp_o_f32_e32 vcc_lo, v2, v2
	s_delay_alu instid0(VALU_DEP_2) | instskip(NEXT) | instid1(VALU_DEP_1)
	v_add3_u32 v1, v2, v1, 0x7fff
	v_lshrrev_b32_e32 v1, 16, v1
	s_wait_alu depctr_va_vcc(0)
	s_delay_alu instid0(VALU_DEP_1)
	v_cndmask_b32_e32 v9, 0x7fff, v1, vcc_lo
	.loc	1 39 52                         ; matmul.py:39:52
	v_add_co_u32 v1, vcc_lo, v0, v75
	s_wait_alu depctr_va_vcc(0)
	v_add_co_ci_u32_e64 v2, null, v17, v76, vcc_lo
	.loc	1 41 21                         ; matmul.py:41:21
	global_store_b16 v[1:2], v9, off
	s_wait_alu depctr_sa_sdst(0)
	s_or_b32 exec_lo, exec_lo, s0
	.loc	1 40 39                         ; matmul.py:40:39
	s_and_b32 s1, s15, s9
	.loc	1 41 21                         ; matmul.py:41:21
	s_wait_alu depctr_sa_sdst(0)
	s_and_saveexec_b32 s0, s1
	s_cbranch_execz .LBB0_358
.LBB0_404:
	.loc	1 35 23                         ; matmul.py:35:23
	v_bfe_u32 v1, v3, 16, 1
	v_cmp_o_f32_e32 vcc_lo, v3, v3
	s_delay_alu instid0(VALU_DEP_2) | instskip(NEXT) | instid1(VALU_DEP_1)
	v_add3_u32 v1, v3, v1, 0x7fff
	v_lshrrev_b32_e32 v1, 16, v1
	s_wait_alu depctr_va_vcc(0)
	s_delay_alu instid0(VALU_DEP_1)
	v_cndmask_b32_e32 v3, 0x7fff, v1, vcc_lo
	.loc	1 39 52                         ; matmul.py:39:52
	v_add_co_u32 v1, vcc_lo, v0, v49
	s_wait_alu depctr_va_vcc(0)
	v_add_co_ci_u32_e64 v2, null, v17, v50, vcc_lo
	.loc	1 41 21                         ; matmul.py:41:21
	global_store_b16 v[1:2], v3, off
	s_wait_alu depctr_sa_sdst(0)
	s_or_b32 exec_lo, exec_lo, s0
	.loc	1 40 39                         ; matmul.py:40:39
	s_and_b32 s1, s15, s10
	.loc	1 41 21                         ; matmul.py:41:21
	s_wait_alu depctr_sa_sdst(0)
	s_and_saveexec_b32 s0, s1
	s_cbranch_execz .LBB0_359
.LBB0_405:
	.loc	1 35 23                         ; matmul.py:35:23
	v_bfe_u32 v1, v4, 16, 1
	v_cmp_o_f32_e32 vcc_lo, v4, v4
	s_delay_alu instid0(VALU_DEP_2) | instskip(NEXT) | instid1(VALU_DEP_1)
	v_add3_u32 v1, v4, v1, 0x7fff
	v_lshrrev_b32_e32 v1, 16, v1
	s_wait_alu depctr_va_vcc(0)
	s_delay_alu instid0(VALU_DEP_1)
	v_cndmask_b32_e32 v3, 0x7fff, v1, vcc_lo
	.loc	1 39 52                         ; matmul.py:39:52
	v_add_co_u32 v1, vcc_lo, v0, v77
	s_wait_alu depctr_va_vcc(0)
	v_add_co_ci_u32_e64 v2, null, v17, v78, vcc_lo
	.loc	1 41 21                         ; matmul.py:41:21
	global_store_b16 v[1:2], v3, off
	s_wait_alu depctr_sa_sdst(0)
	s_or_b32 exec_lo, exec_lo, s0
	.loc	1 40 39                         ; matmul.py:40:39
	s_and_b32 s1, s15, s11
	.loc	1 41 21                         ; matmul.py:41:21
	s_wait_alu depctr_sa_sdst(0)
	s_and_saveexec_b32 s0, s1
	s_cbranch_execz .LBB0_360
.LBB0_406:
	.loc	1 35 23                         ; matmul.py:35:23
	v_bfe_u32 v1, v5, 16, 1
	v_cmp_o_f32_e32 vcc_lo, v5, v5
	s_delay_alu instid0(VALU_DEP_2) | instskip(NEXT) | instid1(VALU_DEP_1)
	v_add3_u32 v1, v5, v1, 0x7fff
	v_lshrrev_b32_e32 v1, 16, v1
	s_wait_alu depctr_va_vcc(0)
	s_delay_alu instid0(VALU_DEP_1)
	v_cndmask_b32_e32 v3, 0x7fff, v1, vcc_lo
	.loc	1 39 52                         ; matmul.py:39:52
	v_add_co_u32 v1, vcc_lo, v0, v51
	s_wait_alu depctr_va_vcc(0)
	v_add_co_ci_u32_e64 v2, null, v17, v52, vcc_lo
	.loc	1 41 21                         ; matmul.py:41:21
	global_store_b16 v[1:2], v3, off
	s_wait_alu depctr_sa_sdst(0)
	s_or_b32 exec_lo, exec_lo, s0
	.loc	1 40 39                         ; matmul.py:40:39
	s_and_b32 s1, s15, s12
	.loc	1 41 21                         ; matmul.py:41:21
	s_wait_alu depctr_sa_sdst(0)
	s_and_saveexec_b32 s0, s1
	s_cbranch_execz .LBB0_361
.LBB0_407:
	.loc	1 35 23                         ; matmul.py:35:23
	v_bfe_u32 v1, v6, 16, 1
	v_cmp_o_f32_e32 vcc_lo, v6, v6
	s_delay_alu instid0(VALU_DEP_2) | instskip(NEXT) | instid1(VALU_DEP_1)
	v_add3_u32 v1, v6, v1, 0x7fff
	v_lshrrev_b32_e32 v1, 16, v1
	s_wait_alu depctr_va_vcc(0)
	s_delay_alu instid0(VALU_DEP_1)
	v_cndmask_b32_e32 v3, 0x7fff, v1, vcc_lo
	.loc	1 39 52                         ; matmul.py:39:52
	v_add_co_u32 v1, vcc_lo, v0, v79
	s_wait_alu depctr_va_vcc(0)
	v_add_co_ci_u32_e64 v2, null, v17, v80, vcc_lo
	.loc	1 41 21                         ; matmul.py:41:21
	global_store_b16 v[1:2], v3, off
	s_wait_alu depctr_sa_sdst(0)
	s_or_b32 exec_lo, exec_lo, s0
	.loc	1 40 39                         ; matmul.py:40:39
	s_and_b32 s1, s15, s13
	.loc	1 41 21                         ; matmul.py:41:21
	s_wait_alu depctr_sa_sdst(0)
	s_and_saveexec_b32 s0, s1
	s_cbranch_execz .LBB0_362
.LBB0_408:
	.loc	1 35 23                         ; matmul.py:35:23
	v_bfe_u32 v1, v7, 16, 1
	v_cmp_o_f32_e32 vcc_lo, v7, v7
	s_delay_alu instid0(VALU_DEP_2) | instskip(NEXT) | instid1(VALU_DEP_1)
	v_add3_u32 v1, v7, v1, 0x7fff
	v_lshrrev_b32_e32 v1, 16, v1
	s_wait_alu depctr_va_vcc(0)
	s_delay_alu instid0(VALU_DEP_1)
	v_cndmask_b32_e32 v3, 0x7fff, v1, vcc_lo
	.loc	1 39 52                         ; matmul.py:39:52
	v_add_co_u32 v1, vcc_lo, v0, v53
	s_wait_alu depctr_va_vcc(0)
	v_add_co_ci_u32_e64 v2, null, v17, v54, vcc_lo
	.loc	1 41 21                         ; matmul.py:41:21
	global_store_b16 v[1:2], v3, off
	s_wait_alu depctr_sa_sdst(0)
	s_or_b32 exec_lo, exec_lo, s0
	.loc	1 40 39                         ; matmul.py:40:39
	s_and_b32 s0, s15, s14
	.loc	1 41 21                         ; matmul.py:41:21
	s_wait_alu depctr_sa_sdst(0)
	s_and_saveexec_b32 s1, s0
	s_cbranch_execz .LBB0_363
.LBB0_409:
	.loc	1 35 23                         ; matmul.py:35:23
	v_bfe_u32 v1, v8, 16, 1
	v_cmp_o_f32_e32 vcc_lo, v8, v8
	s_delay_alu instid0(VALU_DEP_2) | instskip(NEXT) | instid1(VALU_DEP_1)
	v_add3_u32 v1, v8, v1, 0x7fff
	v_lshrrev_b32_e32 v1, 16, v1
	s_wait_alu depctr_va_vcc(0)
	s_delay_alu instid0(VALU_DEP_1)
	v_cndmask_b32_e32 v2, 0x7fff, v1, vcc_lo
	.loc	1 39 52                         ; matmul.py:39:52
	v_add_co_u32 v0, vcc_lo, v0, v81
	s_wait_alu depctr_va_vcc(0)
	v_add_co_ci_u32_e64 v1, null, v17, v82, vcc_lo
	.loc	1 41 21                         ; matmul.py:41:21
	global_store_b16 v[0:1], v2, off
	.loc	1 41 4 is_stmt 0                ; matmul.py:41:4
	s_nop 0
	s_sendmsg sendmsg(MSG_DEALLOC_VGPRS)
	s_endpgm
.LBB0_410:
	.loc	1 34 18 is_stmt 1               ; matmul.py:34:18
	s_wait_alu depctr_sa_sdst(0)
	s_lshl_b64 s[40:41], s[2:3], 1
	s_wait_alu depctr_sa_sdst(0)
	v_add_co_u32 v10, vcc_lo, v223, s40
	s_wait_alu depctr_va_vcc(0)
	v_add_co_ci_u32_e64 v11, null, s41, v224, vcc_lo
	.loc	1 31 20                         ; matmul.py:31:20
	global_load_u16 v206, v[10:11], off
	.loc	1 31 51 is_stmt 0               ; matmul.py:31:51
	s_cmp_ge_u32 s14, s9
	.loc	1 31 20                         ; matmul.py:31:20
	s_cbranch_scc1 .LBB0_163
.LBB0_411:
	.loc	1 34 18 is_stmt 1               ; matmul.py:34:18
	s_wait_alu depctr_sa_sdst(0)
	s_lshl_b64 s[40:41], s[2:3], 1
	s_wait_alu depctr_sa_sdst(0)
	v_add_co_u32 v10, vcc_lo, v227, s40
	s_wait_alu depctr_va_vcc(0)
	v_add_co_ci_u32_e64 v11, null, s41, v228, vcc_lo
	.loc	1 31 20                         ; matmul.py:31:20
	global_load_u16 v205, v[10:11], off
	v_dual_mov_b32 v207, 0 :: v_dual_mov_b32 v208, 0
	.loc	1 31 51 is_stmt 0               ; matmul.py:31:51
	s_cmp_ge_u32 s15, s9
	.loc	1 31 20                         ; matmul.py:31:20
	s_cbranch_scc1 .LBB0_164
.LBB0_412:
	.loc	1 34 18 is_stmt 1               ; matmul.py:34:18
	s_wait_alu depctr_sa_sdst(0)
	s_lshl_b64 s[40:41], s[2:3], 1
	s_wait_alu depctr_sa_sdst(0)
	v_add_co_u32 v10, vcc_lo, v229, s40
	s_wait_alu depctr_va_vcc(0)
	v_add_co_ci_u32_e64 v11, null, s41, v230, vcc_lo
	.loc	1 31 20                         ; matmul.py:31:20
	global_load_u16 v208, v[10:11], off
	.loc	1 31 51 is_stmt 0               ; matmul.py:31:51
	s_cmp_ge_u32 s23, s9
	.loc	1 31 20                         ; matmul.py:31:20
	s_cbranch_scc1 .LBB0_165
.LBB0_413:
	.loc	1 34 18 is_stmt 1               ; matmul.py:34:18
	s_wait_alu depctr_sa_sdst(0)
	s_lshl_b64 s[40:41], s[2:3], 1
	s_wait_alu depctr_sa_sdst(0)
	v_add_co_u32 v10, vcc_lo, v231, s40
	s_wait_alu depctr_va_vcc(0)
	v_add_co_ci_u32_e64 v11, null, s41, v232, vcc_lo
	.loc	1 31 20                         ; matmul.py:31:20
	global_load_u16 v207, v[10:11], off
	v_dual_mov_b32 v209, 0 :: v_dual_mov_b32 v210, 0
	.loc	1 31 51 is_stmt 0               ; matmul.py:31:51
	s_cmp_ge_u32 s26, s9
	.loc	1 31 20                         ; matmul.py:31:20
	s_cbranch_scc1 .LBB0_166
.LBB0_414:
	.loc	1 34 18 is_stmt 1               ; matmul.py:34:18
	s_wait_alu depctr_sa_sdst(0)
	s_lshl_b64 s[40:41], s[2:3], 1
	s_wait_alu depctr_sa_sdst(0)
	v_add_co_u32 v10, vcc_lo, v233, s40
	s_wait_alu depctr_va_vcc(0)
	v_add_co_ci_u32_e64 v11, null, s41, v234, vcc_lo
	.loc	1 31 20                         ; matmul.py:31:20
	global_load_u16 v210, v[10:11], off
	.loc	1 31 51 is_stmt 0               ; matmul.py:31:51
	s_cmp_ge_u32 s27, s9
	.loc	1 31 20                         ; matmul.py:31:20
	s_cbranch_scc1 .LBB0_167
.LBB0_415:
	.loc	1 34 18 is_stmt 1               ; matmul.py:34:18
	s_wait_alu depctr_sa_sdst(0)
	s_lshl_b64 s[40:41], s[2:3], 1
	s_wait_alu depctr_sa_sdst(0)
	v_add_co_u32 v10, vcc_lo, v235, s40
	s_wait_alu depctr_va_vcc(0)
	v_add_co_ci_u32_e64 v11, null, s41, v236, vcc_lo
	.loc	1 31 20                         ; matmul.py:31:20
	global_load_u16 v209, v[10:11], off
	v_dual_mov_b32 v211, 0 :: v_dual_mov_b32 v212, 0
	.loc	1 31 51 is_stmt 0               ; matmul.py:31:51
	s_cmp_ge_u32 s28, s9
	.loc	1 31 20                         ; matmul.py:31:20
	s_cbranch_scc1 .LBB0_168
.LBB0_416:
	.loc	1 34 18 is_stmt 1               ; matmul.py:34:18
	s_wait_alu depctr_sa_sdst(0)
	s_lshl_b64 s[40:41], s[2:3], 1
	s_wait_alu depctr_sa_sdst(0)
	v_add_co_u32 v10, vcc_lo, v237, s40
	s_wait_alu depctr_va_vcc(0)
	v_add_co_ci_u32_e64 v11, null, s41, v238, vcc_lo
	.loc	1 31 20                         ; matmul.py:31:20
	global_load_u16 v212, v[10:11], off
	.loc	1 31 51 is_stmt 0               ; matmul.py:31:51
	s_cmp_ge_u32 s29, s9
	.loc	1 31 20                         ; matmul.py:31:20
	s_cbranch_scc1 .LBB0_169
.LBB0_417:
	.loc	1 34 18 is_stmt 1               ; matmul.py:34:18
	s_wait_alu depctr_sa_sdst(0)
	s_lshl_b64 s[40:41], s[2:3], 1
	s_wait_alu depctr_sa_sdst(0)
	v_add_co_u32 v10, vcc_lo, v239, s40
	s_wait_alu depctr_va_vcc(0)
	v_add_co_ci_u32_e64 v11, null, s41, v240, vcc_lo
	.loc	1 31 20                         ; matmul.py:31:20
	global_load_u16 v211, v[10:11], off
	v_dual_mov_b32 v213, 0 :: v_dual_mov_b32 v214, 0
	.loc	1 31 51 is_stmt 0               ; matmul.py:31:51
	s_cmp_ge_u32 s30, s9
	.loc	1 31 20                         ; matmul.py:31:20
	s_cbranch_scc1 .LBB0_170
.LBB0_418:
	.loc	1 34 18 is_stmt 1               ; matmul.py:34:18
	s_wait_alu depctr_sa_sdst(0)
	s_lshl_b64 s[40:41], s[2:3], 1
	s_wait_alu depctr_sa_sdst(0)
	v_add_co_u32 v10, vcc_lo, v241, s40
	s_wait_alu depctr_va_vcc(0)
	v_add_co_ci_u32_e64 v11, null, s41, v242, vcc_lo
	.loc	1 31 20                         ; matmul.py:31:20
	global_load_u16 v214, v[10:11], off
	.loc	1 31 51 is_stmt 0               ; matmul.py:31:51
	s_cmp_ge_u32 s31, s9
	.loc	1 31 20                         ; matmul.py:31:20
	s_cbranch_scc1 .LBB0_171
.LBB0_419:
	.loc	1 34 18 is_stmt 1               ; matmul.py:34:18
	s_wait_alu depctr_sa_sdst(0)
	s_lshl_b64 s[40:41], s[2:3], 1
	s_wait_alu depctr_sa_sdst(0)
	v_add_co_u32 v10, vcc_lo, v243, s40
	s_wait_alu depctr_va_vcc(0)
	v_add_co_ci_u32_e64 v11, null, s41, v244, vcc_lo
	.loc	1 31 20                         ; matmul.py:31:20
	global_load_u16 v213, v[10:11], off
	v_dual_mov_b32 v215, 0 :: v_dual_mov_b32 v216, 0
	.loc	1 31 51 is_stmt 0               ; matmul.py:31:51
	s_cmp_ge_u32 s33, s9
	.loc	1 31 20                         ; matmul.py:31:20
	s_cbranch_scc1 .LBB0_172
.LBB0_420:
	.loc	1 34 18 is_stmt 1               ; matmul.py:34:18
	s_wait_alu depctr_sa_sdst(0)
	s_lshl_b64 s[40:41], s[2:3], 1
	s_wait_alu depctr_sa_sdst(0)
	v_add_co_u32 v10, vcc_lo, v245, s40
	s_wait_alu depctr_va_vcc(0)
	v_add_co_ci_u32_e64 v11, null, s41, v246, vcc_lo
	.loc	1 31 20                         ; matmul.py:31:20
	global_load_u16 v216, v[10:11], off
	.loc	1 31 51 is_stmt 0               ; matmul.py:31:51
	s_cmp_ge_u32 s35, s9
	.loc	1 31 20                         ; matmul.py:31:20
	s_cbranch_scc1 .LBB0_173
.LBB0_421:
	.loc	1 34 18 is_stmt 1               ; matmul.py:34:18
	s_wait_alu depctr_sa_sdst(0)
	s_lshl_b64 s[40:41], s[2:3], 1
	s_wait_alu depctr_sa_sdst(0)
	v_add_co_u32 v10, vcc_lo, v247, s40
	s_wait_alu depctr_va_vcc(0)
	v_add_co_ci_u32_e64 v11, null, s41, v248, vcc_lo
	.loc	1 31 20                         ; matmul.py:31:20
	global_load_u16 v215, v[10:11], off
	v_dual_mov_b32 v217, 0 :: v_dual_mov_b32 v218, 0
	.loc	1 31 51 is_stmt 0               ; matmul.py:31:51
	s_cmp_ge_u32 s36, s9
	.loc	1 31 20                         ; matmul.py:31:20
	s_cbranch_scc1 .LBB0_174
.LBB0_422:
	.loc	1 34 18 is_stmt 1               ; matmul.py:34:18
	s_wait_alu depctr_sa_sdst(0)
	s_lshl_b64 s[40:41], s[2:3], 1
	s_wait_alu depctr_sa_sdst(0)
	v_add_co_u32 v10, vcc_lo, v249, s40
	s_wait_alu depctr_va_vcc(0)
	v_add_co_ci_u32_e64 v11, null, s41, v250, vcc_lo
	.loc	1 31 20                         ; matmul.py:31:20
	global_load_u16 v218, v[10:11], off
	.loc	1 31 51 is_stmt 0               ; matmul.py:31:51
	s_cmp_ge_u32 s37, s9
	.loc	1 31 20                         ; matmul.py:31:20
	s_cbranch_scc1 .LBB0_175
.LBB0_423:
	.loc	1 34 18 is_stmt 1               ; matmul.py:34:18
	s_wait_alu depctr_sa_sdst(0)
	s_lshl_b64 s[40:41], s[2:3], 1
	s_wait_alu depctr_sa_sdst(0)
	v_add_co_u32 v10, vcc_lo, v251, s40
	s_wait_alu depctr_va_vcc(0)
	v_add_co_ci_u32_e64 v11, null, s41, v252, vcc_lo
	.loc	1 31 20                         ; matmul.py:31:20
	global_load_u16 v217, v[10:11], off
	v_dual_mov_b32 v219, 0 :: v_dual_mov_b32 v220, 0
	.loc	1 31 51 is_stmt 0               ; matmul.py:31:51
	s_cmp_ge_u32 s38, s9
	.loc	1 31 20                         ; matmul.py:31:20
	s_cbranch_scc0 .LBB0_176
	s_branch .LBB0_177
.Ltmp16:
	.section	.rodata,"a",@progbits
	.p2align	6, 0x0
	.amdhsa_kernel matmul_kernel
		.amdhsa_group_segment_fixed_size 0
		.amdhsa_private_segment_fixed_size 48
		.amdhsa_kernarg_size 80
		.amdhsa_user_sgpr_count 2
		.amdhsa_user_sgpr_dispatch_ptr 0
		.amdhsa_user_sgpr_queue_ptr 0
		.amdhsa_user_sgpr_kernarg_segment_ptr 1
		.amdhsa_user_sgpr_dispatch_id 0
		.amdhsa_user_sgpr_private_segment_size 0
		.amdhsa_wavefront_size32 1
		.amdhsa_uses_dynamic_stack 0
		.amdhsa_enable_private_segment 1
		.amdhsa_system_sgpr_workgroup_id_x 1
		.amdhsa_system_sgpr_workgroup_id_y 1
		.amdhsa_system_sgpr_workgroup_id_z 1
		.amdhsa_system_sgpr_workgroup_info 0
		.amdhsa_system_vgpr_workitem_id 0
		.amdhsa_next_free_vgpr 256
		.amdhsa_next_free_sgpr 42
		.amdhsa_reserve_vcc 1
		.amdhsa_float_round_mode_32 0
		.amdhsa_float_round_mode_16_64 0
		.amdhsa_float_denorm_mode_32 3
		.amdhsa_float_denorm_mode_16_64 3
		.amdhsa_fp16_overflow 0
		.amdhsa_workgroup_processor_mode 1
		.amdhsa_memory_ordered 1
		.amdhsa_forward_progress 1
		.amdhsa_inst_pref_size 199
		.amdhsa_round_robin_scheduling 0
		.amdhsa_exception_fp_ieee_invalid_op 0
		.amdhsa_exception_fp_denorm_src 0
		.amdhsa_exception_fp_ieee_div_zero 0
		.amdhsa_exception_fp_ieee_overflow 0
		.amdhsa_exception_fp_ieee_underflow 0
		.amdhsa_exception_fp_ieee_inexact 0
		.amdhsa_exception_int_div_zero 0
	.end_amdhsa_kernel
	.text
.Lfunc_end0:
	.size	matmul_kernel, .Lfunc_end0-matmul_kernel
	.cfi_endproc
                                        ; -- End function
	.set matmul_kernel.num_vgpr, 256
	.set matmul_kernel.num_agpr, 0
	.set matmul_kernel.numbered_sgpr, 42
	.set matmul_kernel.num_named_barrier, 0
	.set matmul_kernel.private_seg_size, 48
	.set matmul_kernel.uses_vcc, 1
	.set matmul_kernel.uses_flat_scratch, 1
	.set matmul_kernel.has_dyn_sized_stack, 0
	.set matmul_kernel.has_recursion, 0
	.set matmul_kernel.has_indirect_call, 0
	.section	.AMDGPU.csdata,"",@progbits
; Kernel info:
; codeLenInByte = 25420
; TotalNumSgprs: 44
; NumVgprs: 256
; ScratchSize: 48
; MemoryBound: 0
; FloatMode: 240
; IeeeMode: 1
; LDSByteSize: 0 bytes/workgroup (compile time only)
; SGPRBlocks: 0
; VGPRBlocks: 31
; NumSGPRsForWavesPerEU: 44
; NumVGPRsForWavesPerEU: 256
; Occupancy: 5
; WaveLimiterHint : 0
; COMPUTE_PGM_RSRC2:SCRATCH_EN: 1
; COMPUTE_PGM_RSRC2:USER_SGPR: 2
; COMPUTE_PGM_RSRC2:TRAP_HANDLER: 0
; COMPUTE_PGM_RSRC2:TGID_X_EN: 1
; COMPUTE_PGM_RSRC2:TGID_Y_EN: 1
; COMPUTE_PGM_RSRC2:TGID_Z_EN: 1
; COMPUTE_PGM_RSRC2:TIDIG_COMP_CNT: 0
	.text
	.p2alignl 7, 3214868480
	.fill 96, 4, 3214868480
	.section	.AMDGPU.gpr_maximums,"",@progbits
	.set amdgpu.max_num_vgpr, 0
	.set amdgpu.max_num_agpr, 0
	.set amdgpu.max_num_sgpr, 0
	.set amdgpu.max_num_named_barrier, 0
	.text
	.section	.debug_abbrev,"",@progbits
	.byte	1                               ; Abbreviation Code
	.byte	17                              ; DW_TAG_compile_unit
	.byte	1                               ; DW_CHILDREN_yes
	.byte	37                              ; DW_AT_producer
	.byte	14                              ; DW_FORM_strp
	.byte	19                              ; DW_AT_language
	.byte	5                               ; DW_FORM_data2
	.byte	3                               ; DW_AT_name
	.byte	14                              ; DW_FORM_strp
	.byte	16                              ; DW_AT_stmt_list
	.byte	23                              ; DW_FORM_sec_offset
	.byte	27                              ; DW_AT_comp_dir
	.byte	14                              ; DW_FORM_strp
	.byte	17                              ; DW_AT_low_pc
	.byte	1                               ; DW_FORM_addr
	.byte	18                              ; DW_AT_high_pc
	.byte	6                               ; DW_FORM_data4
	.byte	0                               ; EOM(1)
	.byte	0                               ; EOM(2)
	.byte	2                               ; Abbreviation Code
	.byte	46                              ; DW_TAG_subprogram
	.byte	0                               ; DW_CHILDREN_no
	.byte	3                               ; DW_AT_name
	.byte	14                              ; DW_FORM_strp
	.byte	32                              ; DW_AT_inline
	.byte	11                              ; DW_FORM_data1
	.byte	0                               ; EOM(1)
	.byte	0                               ; EOM(2)
	.byte	3                               ; Abbreviation Code
	.byte	46                              ; DW_TAG_subprogram
	.byte	1                               ; DW_CHILDREN_yes
	.byte	17                              ; DW_AT_low_pc
	.byte	1                               ; DW_FORM_addr
	.byte	18                              ; DW_AT_high_pc
	.byte	6                               ; DW_FORM_data4
	.byte	49                              ; DW_AT_abstract_origin
	.byte	19                              ; DW_FORM_ref4
	.byte	0                               ; EOM(1)
	.byte	0                               ; EOM(2)
	.byte	4                               ; Abbreviation Code
	.byte	29                              ; DW_TAG_inlined_subroutine
	.byte	0                               ; DW_CHILDREN_no
	.byte	49                              ; DW_AT_abstract_origin
	.byte	19                              ; DW_FORM_ref4
	.byte	85                              ; DW_AT_ranges
	.byte	23                              ; DW_FORM_sec_offset
	.byte	88                              ; DW_AT_call_file
	.byte	11                              ; DW_FORM_data1
	.byte	89                              ; DW_AT_call_line
	.byte	11                              ; DW_FORM_data1
	.byte	87                              ; DW_AT_call_column
	.byte	11                              ; DW_FORM_data1
	.byte	0                               ; EOM(1)
	.byte	0                               ; EOM(2)
	;; [unrolled: 1-line block ×3, first 2 shown]
	.section	.debug_info,"",@progbits
.Lcu_begin0:
	.long	.Ldebug_info_end0-.Ldebug_info_start0 ; Length of Unit
.Ldebug_info_start0:
	.short	4                               ; DWARF version number
	.long	.debug_abbrev                   ; Offset Into Abbrev. Section
	.byte	8                               ; Address Size (in bytes)
	.byte	1                               ; Abbrev [1] 0xb:0x5c DW_TAG_compile_unit
	.long	.Linfo_string0                  ; DW_AT_producer
	.short	2                               ; DW_AT_language
	.long	.Linfo_string1                  ; DW_AT_name
	.long	.Lline_table_start0             ; DW_AT_stmt_list
	.long	.Linfo_string2                  ; DW_AT_comp_dir
	.quad	.Lfunc_begin0                   ; DW_AT_low_pc
	.long	.Lfunc_end0-.Lfunc_begin0       ; DW_AT_high_pc
	.byte	2                               ; Abbrev [2] 0x2a:0x6 DW_TAG_subprogram
	.long	.Linfo_string3                  ; DW_AT_name
	.byte	1                               ; DW_AT_inline
	.byte	3                               ; Abbrev [3] 0x30:0x36 DW_TAG_subprogram
	.quad	.Lfunc_begin0                   ; DW_AT_low_pc
	.long	.Lfunc_end0-.Lfunc_begin0       ; DW_AT_high_pc
	.long	42                              ; DW_AT_abstract_origin
	.byte	4                               ; Abbrev [4] 0x41:0xc DW_TAG_inlined_subroutine
	.long	42                              ; DW_AT_abstract_origin
	.long	.Ldebug_ranges0                 ; DW_AT_ranges
	.byte	1                               ; DW_AT_call_file
	.byte	14                              ; DW_AT_call_line
	.byte	27                              ; DW_AT_call_column
	.byte	4                               ; Abbrev [4] 0x4d:0xc DW_TAG_inlined_subroutine
	.long	42                              ; DW_AT_abstract_origin
	.long	.Ldebug_ranges1                 ; DW_AT_ranges
	.byte	1                               ; DW_AT_call_file
	.byte	13                              ; DW_AT_call_line
	.byte	27                              ; DW_AT_call_column
	;; [unrolled: 6-line block ×3, first 2 shown]
	.byte	0                               ; End Of Children Mark
	.byte	0                               ; End Of Children Mark
.Ldebug_info_end0:
	.section	.debug_ranges,"",@progbits
.Ldebug_ranges0:
	.quad	.Ltmp1-.Lfunc_begin0
	.quad	.Ltmp2-.Lfunc_begin0
	;; [unrolled: 1-line block ×10, first 2 shown]
	.quad	0
	.quad	0
.Ldebug_ranges1:
	.quad	.Ltmp2-.Lfunc_begin0
	.quad	.Ltmp3-.Lfunc_begin0
	;; [unrolled: 1-line block ×10, first 2 shown]
	.quad	0
	.quad	0
.Ldebug_ranges2:
	.quad	.Ltmp12-.Lfunc_begin0
	.quad	.Ltmp13-.Lfunc_begin0
	;; [unrolled: 1-line block ×4, first 2 shown]
	.quad	0
	.quad	0
	.section	.debug_str,"MS",@progbits,1
.Linfo_string0:
	.asciz	"triton"                        ; string offset=0
.Linfo_string1:
	.asciz	"matmul.py"                     ; string offset=7
.Linfo_string2:
	.asciz	"/root/src/amdgpu-assembly/repos/triton-lang__triton-aot" ; string offset=17
.Linfo_string3:
	.asciz	"matmul_kernel"                 ; string offset=73
	.section	".note.GNU-stack","",@progbits
	.amdgpu_metadata
---
amdhsa.kernels:
  - .args:
      - .address_space:  global
        .offset:         0
        .size:           8
        .value_kind:     global_buffer
      - .address_space:  global
        .offset:         8
        .size:           8
        .value_kind:     global_buffer
      - .address_space:  global
        .offset:         16
        .size:           8
        .value_kind:     global_buffer
      - .offset:         24
        .size:           4
        .value_kind:     by_value
      - .offset:         28
        .size:           4
        .value_kind:     by_value
      - .offset:         32
        .size:           4
        .value_kind:     by_value
      - .offset:         36
        .size:           4
        .value_kind:     by_value
      - .offset:         40
        .size:           4
        .value_kind:     by_value
      - .offset:         44
        .size:           4
        .value_kind:     by_value
      - .offset:         48
        .size:           4
        .value_kind:     by_value
      - .offset:         52
        .size:           4
        .value_kind:     by_value
      - .offset:         56
        .size:           4
        .value_kind:     by_value
      - .address_space:  global
        .offset:         64
        .size:           8
        .value_kind:     global_buffer
      - .address_space:  global
        .offset:         72
        .size:           8
        .value_kind:     global_buffer
    .group_segment_fixed_size: 0
    .kernarg_segment_align: 8
    .kernarg_segment_size: 80
    .max_flat_workgroup_size: 128
    .name:           matmul_kernel
    .private_segment_fixed_size: 48
    .sgpr_count:     44
    .sgpr_spill_count: 0
    .symbol:         matmul_kernel.kd
    .uniform_work_group_size: 1
    .uses_dynamic_stack: false
    .vgpr_count:     256
    .vgpr_spill_count: 11
    .wavefront_size: 32
    .workgroup_processor_mode: 1
amdhsa.target:   amdgcn-amd-amdhsa--gfx1201
amdhsa.version:
  - 1
  - 2
...

	.end_amdgpu_metadata
	.section	.debug_line,"",@progbits
.Lline_table_start0:
